;; amdgpu-corpus repo=ROCm/rocFFT kind=compiled arch=gfx1201 opt=O3
	.text
	.amdgcn_target "amdgcn-amd-amdhsa--gfx1201"
	.amdhsa_code_object_version 6
	.protected	bluestein_single_fwd_len4050_dim1_half_op_CI_CI ; -- Begin function bluestein_single_fwd_len4050_dim1_half_op_CI_CI
	.globl	bluestein_single_fwd_len4050_dim1_half_op_CI_CI
	.p2align	8
	.type	bluestein_single_fwd_len4050_dim1_half_op_CI_CI,@function
bluestein_single_fwd_len4050_dim1_half_op_CI_CI: ; @bluestein_single_fwd_len4050_dim1_half_op_CI_CI
; %bb.0:
	s_load_b128 s[16:19], s[0:1], 0x28
	v_mul_u32_u24_e32 v1, 0x1e6, v0
	s_mov_b32 s2, exec_lo
	v_mov_b32_e32 v3, 0
	s_delay_alu instid0(VALU_DEP_2) | instskip(NEXT) | instid1(VALU_DEP_1)
	v_lshrrev_b32_e32 v1, 16, v1
	v_add_nc_u32_e32 v2, ttmp9, v1
	s_wait_kmcnt 0x0
	s_delay_alu instid0(VALU_DEP_1)
	v_cmpx_gt_u64_e64 s[16:17], v[2:3]
	s_cbranch_execz .LBB0_2
; %bb.1:
	s_clause 0x1
	s_load_b128 s[8:11], s[0:1], 0x18
	s_load_b128 s[4:7], s[0:1], 0x0
	v_mul_lo_u16 v1, 0x87, v1
	v_mov_b32_e32 v4, v2
	s_load_b64 s[0:1], s[0:1], 0x38
	s_delay_alu instid0(VALU_DEP_2)
	v_sub_nc_u16 v87, v0, v1
	scratch_store_b64 off, v[4:5], off offset:216 ; 8-byte Folded Spill
	v_and_b32_e32 v176, 0xffff, v87
	s_wait_kmcnt 0x0
	s_load_b128 s[12:15], s[8:9], 0x0
	s_wait_kmcnt 0x0
	v_mad_co_u64_u32 v[0:1], null, s14, v2, 0
	v_mad_co_u64_u32 v[2:3], null, s12, v176, 0
	s_mul_u64 s[2:3], s[12:13], 0x654
	s_mul_i32 s8, s13, 0xffffc928
	s_delay_alu instid0(SALU_CYCLE_1) | instskip(NEXT) | instid1(VALU_DEP_1)
	s_sub_co_i32 s8, s8, s12
	v_mad_co_u64_u32 v[4:5], null, s15, v4, v[1:2]
	s_delay_alu instid0(VALU_DEP_1) | instskip(NEXT) | instid1(VALU_DEP_3)
	v_mov_b32_e32 v1, v4
	v_mad_co_u64_u32 v[5:6], null, s13, v176, v[3:4]
	v_lshlrev_b32_e32 v174, 2, v176
	v_add_co_u32 v71, null, 0x10e, v176
	s_delay_alu instid0(VALU_DEP_4)
	v_lshlrev_b64_e32 v[0:1], 2, v[0:1]
	v_add_co_u32 v96, null, 0x32a, v176
	v_mov_b32_e32 v3, v5
	s_clause 0x1
	global_load_b32 v27, v174, s[4:5]
	global_load_b32 v26, v174, s[4:5] offset:1620
	v_add_co_u32 v0, vcc_lo, s18, v0
	v_lshlrev_b64_e32 v[2:3], 2, v[2:3]
	v_add_co_ci_u32_e32 v1, vcc_lo, s19, v1, vcc_lo
	s_delay_alu instid0(VALU_DEP_2) | instskip(SKIP_1) | instid1(VALU_DEP_2)
	v_add_co_u32 v0, vcc_lo, v0, v2
	s_wait_alu 0xfffd
	v_add_co_ci_u32_e32 v1, vcc_lo, v1, v3, vcc_lo
	global_load_b32 v11, v[0:1], off
	v_add_co_u32 v0, vcc_lo, v0, s2
	s_wait_alu 0xfffd
	v_add_co_ci_u32_e32 v1, vcc_lo, s3, v1, vcc_lo
	s_delay_alu instid0(VALU_DEP_2) | instskip(SKIP_1) | instid1(VALU_DEP_2)
	v_add_co_u32 v2, vcc_lo, v0, s2
	s_wait_alu 0xfffd
	v_add_co_ci_u32_e32 v3, vcc_lo, s3, v1, vcc_lo
	global_load_b32 v12, v[0:1], off
	global_load_b32 v17, v174, s[4:5] offset:3240
	global_load_b32 v10, v[2:3], off
	v_add_co_u32 v0, vcc_lo, v2, s2
	s_wait_alu 0xfffd
	v_add_co_ci_u32_e32 v1, vcc_lo, s3, v3, vcc_lo
	global_load_b32 v22, v174, s[4:5] offset:4860
	global_load_b32 v9, v[0:1], off
	v_add_co_u32 v0, vcc_lo, v0, s2
	s_wait_alu 0xfffd
	v_add_co_ci_u32_e32 v1, vcc_lo, s3, v1, vcc_lo
	;; [unrolled: 5-line block ×5, first 2 shown]
	global_load_b32 v18, v174, s[4:5] offset:540
	v_add_co_u32 v2, vcc_lo, v0, s2
	s_wait_alu 0xfffd
	v_add_co_ci_u32_e32 v3, vcc_lo, s3, v1, vcc_lo
	s_clause 0x2
	global_load_b32 v34, v174, s[4:5] offset:2160
	global_load_b32 v42, v174, s[4:5] offset:3780
	;; [unrolled: 1-line block ×3, first 2 shown]
	v_add_co_u32 v4, vcc_lo, v2, s2
	s_wait_alu 0xfffd
	v_add_co_ci_u32_e32 v5, vcc_lo, s3, v3, vcc_lo
	s_clause 0x4
	global_load_b32 v39, v174, s[4:5] offset:5400
	global_load_b32 v41, v174, s[4:5] offset:7020
	;; [unrolled: 1-line block ×5, first 2 shown]
	v_mad_co_u64_u32 v[13:14], null, 0xffffc928, s12, v[4:5]
	s_delay_alu instid0(VALU_DEP_1)
	v_add_nc_u32_e32 v14, s8, v14
	global_load_b32 v37, v174, s[4:5] offset:1080
	global_load_b32 v15, v[0:1], off
	global_load_b32 v2, v[2:3], off
	;; [unrolled: 1-line block ×4, first 2 shown]
	v_add_co_u32 v0, vcc_lo, v13, s2
	s_wait_alu 0xfffd
	v_add_co_ci_u32_e32 v1, vcc_lo, s3, v14, vcc_lo
	s_wait_loadcnt 0x1b
	v_lshrrev_b32_e32 v25, 16, v27
	s_wait_loadcnt 0x1a
	v_lshrrev_b32_e32 v29, 16, v26
	s_clause 0x1
	scratch_store_b32 off, v27, off offset:244
	scratch_store_b32 off, v25, off offset:240
	s_wait_loadcnt 0x19
	v_lshrrev_b32_e32 v5, 16, v11
	v_mul_f16_e32 v13, v25, v11
	s_delay_alu instid0(VALU_DEP_2) | instskip(NEXT) | instid1(VALU_DEP_2)
	v_mul_f16_e32 v16, v25, v5
	v_fma_f16 v5, v27, v5, -v13
	s_wait_loadcnt 0x18
	v_lshrrev_b32_e32 v14, 16, v12
	s_wait_loadcnt 0x17
	v_mov_b32_e32 v25, v17
	v_mul_f16_e32 v17, v29, v12
	v_fmac_f16_e32 v16, v27, v11
	s_wait_loadcnt 0x16
	v_lshrrev_b32_e32 v11, 16, v10
	v_mul_f16_e32 v13, v29, v14
	v_lshrrev_b32_e32 v28, 16, v25
	s_clause 0x2
	scratch_store_b32 off, v26, off offset:236
	scratch_store_b32 off, v29, off offset:232
	;; [unrolled: 1-line block ×3, first 2 shown]
	v_fma_f16 v14, v26, v14, -v17
	scratch_store_b32 off, v28, off offset:224 ; 4-byte Folded Spill
	v_mul_f16_e32 v17, v28, v10
	s_wait_loadcnt 0x15
	v_lshrrev_b32_e32 v27, 16, v22
	v_fmac_f16_e32 v13, v26, v12
	v_pack_b32_f16 v5, v16, v5
	v_mul_f16_e32 v12, v28, v11
	s_wait_loadcnt 0x14
	v_lshrrev_b32_e32 v16, 16, v9
	v_fma_f16 v11, v25, v11, -v17
	v_mul_f16_e32 v17, v27, v9
	v_pack_b32_f16 v13, v13, v14
	s_wait_loadcnt 0x13
	v_lshrrev_b32_e32 v26, 16, v21
	v_fmac_f16_e32 v12, v25, v10
	v_mul_f16_e32 v14, v27, v16
	v_fma_f16 v10, v22, v16, -v17
	s_wait_loadcnt 0x12
	v_lshrrev_b32_e32 v16, 16, v7
	s_wait_loadcnt 0x11
	v_lshrrev_b32_e32 v17, 16, v20
	v_pack_b32_f16 v11, v12, v11
	ds_store_b32 v174, v13 offset:1620
	v_mul_f16_e32 v13, v26, v7
	v_fmac_f16_e32 v14, v22, v9
	s_wait_loadcnt 0x10
	v_lshrrev_b32_e32 v12, 16, v8
	global_load_b32 v40, v174, s[4:5] offset:10260
	v_add_nc_u32_e32 v153, 0x800, v174
	v_fma_f16 v9, v21, v16, -v13
	v_mul_f16_e32 v13, v26, v16
	v_pack_b32_f16 v10, v14, v10
	ds_store_b32 v174, v11 offset:3240
	v_mul_f16_e32 v11, v17, v8
	v_mul_f16_e32 v14, v17, v12
	v_fmac_f16_e32 v13, v21, v7
	s_wait_loadcnt 0xd
	v_lshrrev_b32_e32 v36, 16, v34
	v_add_nc_u32_e32 v108, 0xe00, v174
	v_fma_f16 v7, v20, v12, -v11
	v_lshrrev_b32_e32 v11, 16, v19
	s_clause 0x5
	scratch_store_b32 off, v22, off offset:212
	scratch_store_b32 off, v27, off offset:208
	;; [unrolled: 1-line block ×6, first 2 shown]
	s_clause 0x1
	global_load_b32 v35, v174, s[4:5] offset:11880
	global_load_b32 v27, v174, s[4:5] offset:12420
	scratch_store_b32 off, v11, off offset:188 ; 4-byte Folded Spill
	s_clause 0x1
	global_load_b32 v28, v174, s[4:5] offset:10800
	global_load_b32 v12, v174, s[4:5] offset:11340
	v_fmac_f16_e32 v14, v20, v8
	ds_store_b32 v174, v10 offset:4860
	v_pack_b32_f16 v8, v13, v9
	v_lshrrev_b32_e32 v9, 16, v6
	v_mul_f16_e32 v10, v11, v6
	v_pack_b32_f16 v7, v14, v7
	s_clause 0x1
	global_load_b32 v14, v174, s[4:5] offset:12960
	global_load_b32 v29, v174, s[4:5] offset:9180
	v_add_nc_u32_e32 v209, 0x1400, v174
	v_fma_f16 v10, v19, v9, -v10
	v_mul_f16_e32 v9, v11, v9
	v_add_nc_u32_e32 v148, 0x2000, v174
	v_add_nc_u32_e32 v167, 0x2800, v174
	;; [unrolled: 1-line block ×4, first 2 shown]
	v_fmac_f16_e32 v9, v19, v6
	s_wait_loadcnt 0xa
	v_lshrrev_b32_e32 v6, 16, v15
	v_add_nc_u32_e32 v165, 0x3a00, v174
	v_add_nc_u32_e32 v181, 0xc00, v174
	;; [unrolled: 1-line block ×10, first 2 shown]
	s_wait_loadcnt 0x2
	v_lshrrev_b32_e32 v13, 16, v12
	s_delay_alu instid0(VALU_DEP_1) | instskip(SKIP_3) | instid1(VALU_DEP_1)
	v_mul_f16_e32 v11, v13, v15
	scratch_store_b32 off, v13, off offset:180 ; 4-byte Folded Spill
	v_fma_f16 v11, v12, v6, -v11
	v_mul_f16_e32 v6, v13, v6
	v_fmac_f16_e32 v6, v12, v15
	s_wait_loadcnt 0x1
	v_lshrrev_b32_e32 v15, 16, v14
	s_clause 0x2
	scratch_store_b32 off, v14, off offset:168
	scratch_store_b32 off, v12, off offset:176
	;; [unrolled: 1-line block ×3, first 2 shown]
	v_lshrrev_b32_e32 v12, 16, v2
	v_mul_f16_e32 v13, v15, v2
	s_clause 0x3
	global_load_b32 v38, v174, s[4:5] offset:13500
	global_load_b32 v33, v174, s[4:5] offset:15120
	;; [unrolled: 1-line block ×4, first 2 shown]
	scratch_store_b32 off, v15, off offset:172 ; 4-byte Folded Spill
	v_pack_b32_f16 v6, v6, v11
	scratch_store_b32 off, v18, off offset:160 ; 4-byte Folded Spill
	v_fma_f16 v13, v14, v12, -v13
	v_mul_f16_e32 v12, v15, v12
	global_load_b32 v15, v174, s[4:5] offset:14580
	v_fmac_f16_e32 v12, v14, v2
	v_lshrrev_b32_e32 v2, 16, v3
	s_wait_loadcnt 0x0
	v_lshrrev_b32_e32 v16, 16, v15
	s_clause 0x1
	scratch_store_b32 off, v15, off offset:152
	scratch_store_b32 off, v16, off offset:156
	v_mul_f16_e32 v14, v16, v3
	s_delay_alu instid0(VALU_DEP_1) | instskip(SKIP_2) | instid1(VALU_DEP_2)
	v_fma_f16 v14, v15, v2, -v14
	v_mul_f16_e32 v2, v16, v2
	v_lshrrev_b32_e32 v16, 16, v18
	v_fmac_f16_e32 v2, v15, v3
	v_lshrrev_b32_e32 v3, 16, v4
	s_delay_alu instid0(VALU_DEP_3) | instskip(SKIP_4) | instid1(VALU_DEP_1)
	v_mul_f16_e32 v15, v16, v4
	scratch_store_b32 off, v16, off offset:164 ; 4-byte Folded Spill
	v_pack_b32_f16 v2, v2, v14
	v_fma_f16 v15, v18, v3, -v15
	v_mul_f16_e32 v3, v16, v3
	v_fmac_f16_e32 v3, v18, v4
	v_pack_b32_f16 v4, v9, v10
	v_pack_b32_f16 v9, v12, v13
	s_delay_alu instid0(VALU_DEP_3)
	v_pack_b32_f16 v3, v3, v15
	ds_store_b32 v174, v8 offset:6480
	ds_store_b32 v174, v7 offset:8100
	;; [unrolled: 1-line block ×6, first 2 shown]
	ds_store_2addr_b32 v174, v5, v3 offset1:135
	v_add_co_u32 v2, vcc_lo, v0, s2
	s_wait_alu 0xfffd
	v_add_co_ci_u32_e32 v3, vcc_lo, s3, v1, vcc_lo
	global_load_b32 v22, v[0:1], off
	v_add_co_u32 v0, vcc_lo, v2, s2
	s_wait_alu 0xfffd
	v_add_co_ci_u32_e32 v1, vcc_lo, s3, v3, vcc_lo
	s_clause 0x1
	scratch_store_b32 off, v34, off offset:136
	scratch_store_b32 off, v36, off offset:140
	v_add_co_u32 v4, vcc_lo, v0, s2
	s_wait_alu 0xfffd
	v_add_co_ci_u32_e32 v5, vcc_lo, s3, v1, vcc_lo
	s_delay_alu instid0(VALU_DEP_2) | instskip(SKIP_1) | instid1(VALU_DEP_2)
	v_add_co_u32 v6, vcc_lo, v4, s2
	s_wait_alu 0xfffd
	v_add_co_ci_u32_e32 v7, vcc_lo, s3, v5, vcc_lo
	global_load_b32 v4, v[4:5], off
	v_add_co_u32 v8, vcc_lo, v6, s2
	s_wait_alu 0xfffd
	v_add_co_ci_u32_e32 v9, vcc_lo, s3, v7, vcc_lo
	s_delay_alu instid0(VALU_DEP_2) | instskip(SKIP_1) | instid1(VALU_DEP_2)
	v_add_co_u32 v10, vcc_lo, v8, s2
	s_wait_alu 0xfffd
	v_add_co_ci_u32_e32 v11, vcc_lo, s3, v9, vcc_lo
	s_delay_alu instid0(VALU_DEP_2) | instskip(SKIP_1) | instid1(VALU_DEP_2)
	;; [unrolled: 4-line block ×3, first 2 shown]
	v_add_co_u32 v14, vcc_lo, v12, s2
	s_wait_alu 0xfffd
	v_add_co_ci_u32_e32 v15, vcc_lo, s3, v13, vcc_lo
	s_delay_alu instid0(VALU_DEP_1) | instskip(NEXT) | instid1(VALU_DEP_1)
	v_mad_co_u64_u32 v[16:17], null, 0xffffc928, s12, v[14:15]
	v_add_nc_u32_e32 v17, s8, v17
	s_delay_alu instid0(VALU_DEP_2) | instskip(SKIP_1) | instid1(VALU_DEP_2)
	v_add_co_u32 v18, vcc_lo, v16, s2
	s_wait_alu 0xfffd
	v_add_co_ci_u32_e32 v19, vcc_lo, s3, v17, vcc_lo
	s_delay_alu instid0(VALU_DEP_2)
	v_add_co_u32 v20, vcc_lo, v18, s2
	global_load_b32 v18, v[18:19], off
	s_wait_alu 0xfffd
	v_add_co_ci_u32_e32 v21, vcc_lo, s3, v19, vcc_lo
	s_wait_loadcnt 0x2
	v_lshrrev_b32_e32 v19, 16, v22
	v_mul_f16_e32 v23, v36, v22
	s_delay_alu instid0(VALU_DEP_1) | instskip(SKIP_1) | instid1(VALU_DEP_1)
	v_fma_f16 v23, v34, v19, -v23
	v_mul_f16_e32 v19, v36, v19
	v_fmac_f16_e32 v19, v34, v22
	v_mov_b32_e32 v34, v24
	s_delay_alu instid0(VALU_DEP_1) | instskip(SKIP_4) | instid1(VALU_DEP_1)
	v_lshrrev_b32_e32 v36, 16, v34
	scratch_store_b32 off, v36, off offset:68 ; 4-byte Folded Spill
	s_wait_loadcnt 0x0
	v_lshrrev_b32_e32 v22, 16, v18
	v_mul_f16_e32 v24, v36, v18
	v_fma_f16 v24, v34, v22, -v24
	v_mul_f16_e32 v22, v36, v22
	s_delay_alu instid0(VALU_DEP_1) | instskip(SKIP_2) | instid1(VALU_DEP_3)
	v_fmac_f16_e32 v22, v34, v18
	v_pack_b32_f16 v18, v19, v23
	v_lshrrev_b32_e32 v23, 16, v32
	v_pack_b32_f16 v19, v22, v24
	v_lshrrev_b32_e32 v22, 16, v42
	s_clause 0x1
	scratch_store_b32 off, v42, off offset:144
	scratch_store_b32 off, v23, off offset:60
	ds_store_2addr_b32 v153, v18, v19 offset0:28 offset1:163
	scratch_store_b32 off, v22, off offset:148 ; 4-byte Folded Spill
	global_load_b32 v18, v[2:3], off
	global_load_b32 v19, v[20:21], off
	v_add_co_u32 v2, vcc_lo, v20, s2
	s_wait_alu 0xfffd
	v_add_co_ci_u32_e32 v3, vcc_lo, s3, v21, vcc_lo
	s_wait_loadcnt 0x1
	v_lshrrev_b32_e32 v20, 16, v18
	v_mul_f16_e32 v21, v22, v18
	s_delay_alu instid0(VALU_DEP_1) | instskip(SKIP_3) | instid1(VALU_DEP_2)
	v_fma_f16 v21, v42, v20, -v21
	v_mul_f16_e32 v20, v22, v20
	s_wait_loadcnt 0x0
	v_mul_f16_e32 v22, v23, v19
	v_fmac_f16_e32 v20, v42, v18
	v_lshrrev_b32_e32 v18, 16, v19
	s_delay_alu instid0(VALU_DEP_1) | instskip(SKIP_1) | instid1(VALU_DEP_1)
	v_fma_f16 v22, v32, v18, -v22
	v_mul_f16_e32 v18, v23, v18
	v_fmac_f16_e32 v18, v32, v19
	v_pack_b32_f16 v19, v20, v21
	v_lshrrev_b32_e32 v20, 16, v39
	v_lshrrev_b32_e32 v21, 16, v31
	scratch_store_b32 off, v39, off offset:120 ; 4-byte Folded Spill
	v_pack_b32_f16 v18, v18, v22
	s_clause 0x1
	scratch_store_b32 off, v20, off offset:124
	scratch_store_b32 off, v21, off offset:52
	ds_store_2addr_b32 v108, v19, v18 offset0:49 offset1:184
	global_load_b32 v18, v[0:1], off
	v_add_co_u32 v0, vcc_lo, v2, s2
	global_load_b32 v2, v[2:3], off
	s_wait_alu 0xfffd
	v_add_co_ci_u32_e32 v1, vcc_lo, s3, v3, vcc_lo
	s_wait_loadcnt 0x1
	v_lshrrev_b32_e32 v3, 16, v18
	v_mul_f16_e32 v19, v20, v18
	s_delay_alu instid0(VALU_DEP_1) | instskip(SKIP_3) | instid1(VALU_DEP_2)
	v_fma_f16 v19, v39, v3, -v19
	v_mul_f16_e32 v3, v20, v3
	s_wait_loadcnt 0x0
	v_mul_f16_e32 v20, v21, v2
	v_fmac_f16_e32 v3, v39, v18
	v_lshrrev_b32_e32 v18, 16, v2
	s_delay_alu instid0(VALU_DEP_1) | instskip(SKIP_1) | instid1(VALU_DEP_1)
	v_fma_f16 v20, v31, v18, -v20
	v_mul_f16_e32 v18, v21, v18
	v_fmac_f16_e32 v18, v31, v2
	v_pack_b32_f16 v2, v3, v19
	v_lshrrev_b32_e32 v19, 16, v30
	s_clause 0x1
	scratch_store_b32 off, v30, off offset:40
	scratch_store_b32 off, v31, off offset:48
	v_pack_b32_f16 v3, v18, v20
	v_lshrrev_b32_e32 v18, 16, v41
	s_clause 0x2
	scratch_store_b32 off, v41, off offset:128
	scratch_store_b32 off, v32, off offset:56
	;; [unrolled: 1-line block ×3, first 2 shown]
	ds_store_2addr_b32 v209, v2, v3 offset0:70 offset1:205
	v_add_co_u32 v2, vcc_lo, v0, s2
	global_load_b32 v0, v[0:1], off
	s_wait_alu 0xfffd
	v_add_co_ci_u32_e32 v3, vcc_lo, s3, v1, vcc_lo
	v_lshrrev_b32_e32 v1, 16, v4
	v_mul_f16_e32 v5, v18, v4
	s_clause 0x1
	scratch_store_b32 off, v18, off offset:132
	scratch_store_b32 off, v19, off offset:44
	v_fma_f16 v5, v41, v1, -v5
	v_mul_f16_e32 v1, v18, v1
	s_delay_alu instid0(VALU_DEP_1) | instskip(SKIP_3) | instid1(VALU_DEP_1)
	v_fmac_f16_e32 v1, v41, v4
	s_wait_loadcnt 0x0
	v_lshrrev_b32_e32 v4, 16, v0
	v_mul_f16_e32 v18, v19, v0
	v_fma_f16 v18, v30, v4, -v18
	v_mul_f16_e32 v4, v19, v4
	s_delay_alu instid0(VALU_DEP_1) | instskip(SKIP_1) | instid1(VALU_DEP_2)
	v_fmac_f16_e32 v4, v30, v0
	v_pack_b32_f16 v0, v1, v5
	v_pack_b32_f16 v1, v4, v18
	v_add_nc_u32_e32 v4, 0x1a00, v174
	ds_store_2addr_b32 v4, v0, v1 offset0:91 offset1:226
	v_mov_b32_e32 v166, v4
	global_load_b32 v4, v[6:7], off
	v_add_co_u32 v0, vcc_lo, v2, s2
	global_load_b32 v2, v[2:3], off
	global_load_b32 v6, v174, s[4:5] offset:8640
	s_wait_alu 0xfffd
	v_add_co_ci_u32_e32 v1, vcc_lo, s3, v3, vcc_lo
	scratch_store_b32 off, v38, off offset:96 ; 4-byte Folded Spill
	s_wait_loadcnt 0x2
	v_lshrrev_b32_e32 v3, 16, v4
	s_wait_loadcnt 0x0
	v_lshrrev_b32_e32 v7, 16, v6
	s_clause 0x1
	scratch_store_b32 off, v6, off offset:104
	scratch_store_b32 off, v7, off offset:108
	v_mul_f16_e32 v5, v7, v4
	s_delay_alu instid0(VALU_DEP_1) | instskip(SKIP_2) | instid1(VALU_DEP_2)
	v_fma_f16 v5, v6, v3, -v5
	v_mul_f16_e32 v3, v7, v3
	v_lshrrev_b32_e32 v7, 16, v29
	v_fmac_f16_e32 v3, v6, v4
	v_lshrrev_b32_e32 v4, 16, v2
	s_delay_alu instid0(VALU_DEP_3)
	v_mul_f16_e32 v6, v7, v2
	scratch_store_b32 off, v7, off offset:36 ; 4-byte Folded Spill
	v_fma_f16 v6, v29, v4, -v6
	v_mul_f16_e32 v4, v7, v4
	v_lshrrev_b32_e32 v7, 16, v28
	scratch_store_b32 off, v29, off offset:32 ; 4-byte Folded Spill
	v_fmac_f16_e32 v4, v29, v2
	scratch_store_b32 off, v7, off offset:28 ; 4-byte Folded Spill
	v_pack_b32_f16 v2, v3, v5
	v_pack_b32_f16 v3, v4, v6
	global_load_b32 v4, v[8:9], off
	v_lshrrev_b32_e32 v6, 16, v40
	scratch_store_b32 off, v40, off offset:112 ; 4-byte Folded Spill
	ds_store_2addr_b32 v148, v2, v3 offset0:112 offset1:247
	v_add_co_u32 v2, vcc_lo, v0, s2
	scratch_store_b32 off, v6, off offset:116 ; 4-byte Folded Spill
	global_load_b32 v0, v[0:1], off
	s_wait_alu 0xfffd
	v_add_co_ci_u32_e32 v3, vcc_lo, s3, v1, vcc_lo
	s_wait_loadcnt 0x1
	v_lshrrev_b32_e32 v1, 16, v4
	v_mul_f16_e32 v5, v6, v4
	s_delay_alu instid0(VALU_DEP_1) | instskip(SKIP_3) | instid1(VALU_DEP_2)
	v_fma_f16 v5, v40, v1, -v5
	v_mul_f16_e32 v1, v6, v1
	s_wait_loadcnt 0x0
	v_mul_f16_e32 v6, v7, v0
	v_fmac_f16_e32 v1, v40, v4
	v_lshrrev_b32_e32 v4, 16, v0
	s_delay_alu instid0(VALU_DEP_1)
	v_fma_f16 v6, v28, v4, -v6
	v_mul_f16_e32 v4, v7, v4
	v_lshrrev_b32_e32 v7, 16, v27
	scratch_store_b32 off, v28, off offset:24 ; 4-byte Folded Spill
	v_fmac_f16_e32 v4, v28, v0
	scratch_store_b32 off, v7, off offset:20 ; 4-byte Folded Spill
	v_pack_b32_f16 v0, v1, v5
	v_pack_b32_f16 v1, v4, v6
	global_load_b32 v4, v[10:11], off
	v_lshrrev_b32_e32 v6, 16, v35
	scratch_store_b32 off, v35, off offset:88 ; 4-byte Folded Spill
	ds_store_2addr_b32 v167, v0, v1 offset0:5 offset1:140
	v_add_co_u32 v0, vcc_lo, v2, s2
	scratch_store_b32 off, v6, off offset:92 ; 4-byte Folded Spill
	global_load_b32 v2, v[2:3], off
	s_wait_alu 0xfffd
	v_add_co_ci_u32_e32 v1, vcc_lo, s3, v3, vcc_lo
	s_wait_loadcnt 0x1
	v_lshrrev_b32_e32 v3, 16, v4
	v_mul_f16_e32 v5, v6, v4
	s_delay_alu instid0(VALU_DEP_1) | instskip(SKIP_3) | instid1(VALU_DEP_2)
	v_fma_f16 v5, v35, v3, -v5
	v_mul_f16_e32 v3, v6, v3
	s_wait_loadcnt 0x0
	v_mul_f16_e32 v6, v7, v2
	v_fmac_f16_e32 v3, v35, v4
	v_lshrrev_b32_e32 v4, 16, v2
	s_delay_alu instid0(VALU_DEP_1) | instskip(SKIP_2) | instid1(VALU_DEP_2)
	v_fma_f16 v6, v27, v4, -v6
	v_mul_f16_e32 v4, v7, v4
	v_lshrrev_b32_e32 v7, 16, v26
	v_fmac_f16_e32 v4, v27, v2
	v_pack_b32_f16 v2, v3, v5
	scratch_store_b32 off, v7, off offset:12 ; 4-byte Folded Spill
	v_pack_b32_f16 v3, v4, v6
	global_load_b32 v4, v[12:13], off
	v_lshrrev_b32_e32 v6, 16, v38
	ds_store_2addr_b32 v179, v2, v3 offset0:26 offset1:161
	v_add_co_u32 v2, vcc_lo, v0, s2
	global_load_b32 v0, v[0:1], off
	s_wait_alu 0xfffd
	v_add_co_ci_u32_e32 v3, vcc_lo, s3, v1, vcc_lo
	scratch_store_b32 off, v6, off offset:100 ; 4-byte Folded Spill
	v_cmp_gt_u16_e32 vcc_lo, 15, v87
	v_add_nc_u32_e32 v183, 0x1000, v174
	s_wait_loadcnt 0x1
	v_lshrrev_b32_e32 v1, 16, v4
	v_mul_f16_e32 v5, v6, v4
	s_delay_alu instid0(VALU_DEP_1) | instskip(SKIP_3) | instid1(VALU_DEP_2)
	v_fma_f16 v5, v38, v1, -v5
	v_mul_f16_e32 v1, v6, v1
	s_wait_loadcnt 0x0
	v_mul_f16_e32 v6, v7, v0
	v_fmac_f16_e32 v1, v38, v4
	v_lshrrev_b32_e32 v4, 16, v0
	s_delay_alu instid0(VALU_DEP_1) | instskip(SKIP_1) | instid1(VALU_DEP_1)
	v_fma_f16 v6, v26, v4, -v6
	v_mul_f16_e32 v4, v7, v4
	v_fmac_f16_e32 v4, v26, v0
	v_pack_b32_f16 v0, v1, v5
	v_lshrrev_b32_e32 v5, 16, v25
	s_clause 0x1
	scratch_store_b32 off, v26, off offset:8
	scratch_store_b32 off, v27, off offset:16
	v_pack_b32_f16 v1, v4, v6
	v_lshrrev_b32_e32 v4, 16, v33
	ds_store_2addr_b32 v107, v0, v1 offset0:47 offset1:182
	global_load_b32 v0, v[14:15], off
	global_load_b32 v1, v[2:3], off
	s_clause 0x3
	scratch_store_b32 off, v33, off offset:72
	scratch_store_b32 off, v4, off offset:76
	scratch_store_b32 off, v25, off
	scratch_store_b32 off, v5, off offset:4
	s_load_b128 s[8:11], s[10:11], 0x0
	s_wait_kmcnt 0x0
	s_mul_u64 s[12:13], s[8:9], 0x654
	s_wait_loadcnt 0x1
	v_lshrrev_b32_e32 v2, 16, v0
	v_mul_f16_e32 v3, v4, v0
	s_delay_alu instid0(VALU_DEP_1) | instskip(SKIP_3) | instid1(VALU_DEP_2)
	v_fma_f16 v3, v33, v2, -v3
	v_mul_f16_e32 v2, v4, v2
	s_wait_loadcnt 0x0
	v_mul_f16_e32 v4, v5, v1
	v_fmac_f16_e32 v2, v33, v0
	v_lshrrev_b32_e32 v0, 16, v1
	s_delay_alu instid0(VALU_DEP_1) | instskip(SKIP_1) | instid1(VALU_DEP_1)
	v_fma_f16 v4, v25, v0, -v4
	v_mul_f16_e32 v0, v5, v0
	v_fmac_f16_e32 v0, v25, v1
	v_pack_b32_f16 v1, v2, v3
	v_lshrrev_b32_e32 v3, 16, v37
	scratch_store_b32 off, v37, off offset:80 ; 4-byte Folded Spill
	v_pack_b32_f16 v0, v0, v4
	scratch_store_b32 off, v3, off offset:84 ; 4-byte Folded Spill
	ds_store_2addr_b32 v165, v1, v0 offset0:68 offset1:203
	global_load_b32 v0, v[16:17], off
	s_wait_loadcnt 0x0
	v_lshrrev_b32_e32 v1, 16, v0
	v_mul_f16_e32 v2, v3, v0
	s_delay_alu instid0(VALU_DEP_1) | instskip(SKIP_1) | instid1(VALU_DEP_1)
	v_fma_f16 v2, v37, v1, -v2
	v_mul_f16_e32 v1, v3, v1
	v_fmac_f16_e32 v1, v37, v0
	s_delay_alu instid0(VALU_DEP_1)
	v_pack_b32_f16 v0, v1, v2
	ds_store_b32 v174, v0 offset:1080
	global_wb scope:SCOPE_SE
	s_wait_storecnt_dscnt 0x0
	s_barrier_signal -1
	s_barrier_wait -1
	global_inv scope:SCOPE_SE
	ds_load_2addr_b32 v[19:20], v181 offset0:42 offset1:177
	ds_load_2addr_b32 v[21:22], v178 offset0:84 offset1:219
	;; [unrolled: 1-line block ×8, first 2 shown]
	s_wait_dscnt 0x7
	v_lshrrev_b32_e32 v14, 16, v19
	s_wait_dscnt 0x6
	v_sub_f16_e32 v0, v19, v21
	s_wait_dscnt 0x4
	v_sub_f16_e32 v1, v25, v27
	v_lshrrev_b32_e32 v12, 16, v21
	v_lshrrev_b32_e32 v13, 16, v27
	;; [unrolled: 1-line block ×3, first 2 shown]
	s_wait_dscnt 0x3
	v_lshrrev_b32_e32 v16, 16, v7
	v_add_f16_e32 v31, v0, v1
	s_wait_dscnt 0x2
	v_sub_f16_e32 v0, v3, v7
	s_wait_dscnt 0x0
	v_sub_f16_e32 v1, v5, v9
	v_lshrrev_b32_e32 v17, 16, v9
	v_lshrrev_b32_e32 v18, 16, v3
	;; [unrolled: 1-line block ×3, first 2 shown]
	v_add_f16_e32 v10, v7, v9
	v_add_f16_e32 v32, v0, v1
	v_sub_f16_e32 v0, v14, v12
	v_sub_f16_e32 v1, v15, v13
	;; [unrolled: 1-line block ×6, first 2 shown]
	v_add_f16_e32 v33, v0, v1
	v_sub_f16_e32 v0, v18, v16
	v_sub_f16_e32 v1, v29, v17
	v_add_f16_e32 v43, v21, v27
	v_add_f16_e32 v47, v12, v13
	v_sub_f16_e32 v51, v19, v25
	v_sub_f16_e32 v52, v21, v27
	v_add_f16_e32 v34, v0, v1
	ds_load_2addr_b32 v[0:1], v185 offset0:14 offset1:149
	s_wait_dscnt 0x0
	v_fma_f16 v35, -0.5, v10, v1
	v_lshrrev_b32_e32 v30, 16, v1
	v_add_f16_e32 v10, v16, v17
	v_add_f16_e32 v24, v1, v3
	s_delay_alu instid0(VALU_DEP_3) | instskip(NEXT) | instid1(VALU_DEP_3)
	v_add_f16_e32 v46, v30, v18
	v_fma_f16 v36, -0.5, v10, v30
	v_fmamk_f16 v10, v37, 0x3b9c, v35
	s_delay_alu instid0(VALU_DEP_4)
	v_add_f16_e32 v24, v24, v7
	v_sub_f16_e32 v7, v7, v3
	v_add_f16_e32 v3, v3, v5
	v_fmamk_f16 v11, v39, 0xbb9c, v36
	v_fmac_f16_e32 v10, 0x38b4, v38
	v_add_f16_e32 v24, v24, v9
	v_add_f16_e32 v46, v46, v16
	v_fma_f16 v1, -0.5, v3, v1
	v_fmac_f16_e32 v11, 0xb8b4, v40
	v_fmac_f16_e32 v10, 0x34f2, v32
	v_add_f16_e32 v49, v24, v5
	v_add_f16_e32 v24, v46, v17
	v_sub_f16_e32 v46, v12, v13
	v_fmac_f16_e32 v11, 0x34f2, v34
	v_mul_f16_e32 v41, 0x3a79, v10
	v_mul_f16_e32 v42, 0xb8b4, v10
	v_sub_f16_e32 v9, v9, v5
	v_fmamk_f16 v3, v38, 0xbb9c, v1
	v_fmac_f16_e32 v1, 0x3b9c, v38
	v_fmac_f16_e32 v41, 0x38b4, v11
	;; [unrolled: 1-line block ×3, first 2 shown]
	ds_load_2addr_b32 v[10:11], v174 offset1:135
	v_add_f16_e32 v7, v7, v9
	v_fmac_f16_e32 v3, 0x38b4, v37
	v_fmac_f16_e32 v1, 0xb8b4, v37
	v_add_f16_e32 v55, v24, v29
	v_sub_f16_e32 v17, v17, v29
	v_fmac_f16_e32 v35, 0xbb9c, v37
	v_fmac_f16_e32 v3, 0x34f2, v7
	;; [unrolled: 1-line block ×4, first 2 shown]
	s_delay_alu instid0(VALU_DEP_4) | instskip(NEXT) | instid1(VALU_DEP_2)
	v_fmac_f16_e32 v35, 0xb8b4, v38
	v_fmac_f16_e32 v36, 0x38b4, v40
	s_delay_alu instid0(VALU_DEP_2) | instskip(SKIP_1) | instid1(VALU_DEP_3)
	v_fmac_f16_e32 v35, 0x34f2, v32
	v_sub_f16_e32 v32, v20, v26
	v_fmac_f16_e32 v36, 0x34f2, v34
	s_wait_dscnt 0x0
	v_add_f16_e32 v23, v10, v19
	v_lshrrev_b32_e32 v44, 16, v10
	v_fma_f16 v43, -0.5, v43, v10
	s_delay_alu instid0(VALU_DEP_3) | instskip(NEXT) | instid1(VALU_DEP_3)
	v_add_f16_e32 v23, v23, v21
	v_add_f16_e32 v45, v44, v14
	v_fma_f16 v47, -0.5, v47, v44
	v_sub_f16_e32 v21, v21, v19
	s_delay_alu instid0(VALU_DEP_4) | instskip(NEXT) | instid1(VALU_DEP_4)
	v_add_f16_e32 v23, v23, v27
	v_add_f16_e32 v45, v45, v12
	v_sub_f16_e32 v12, v12, v14
	v_fmamk_f16 v53, v51, 0xbb9c, v47
	v_sub_f16_e32 v27, v27, v25
	v_add_f16_e32 v48, v23, v25
	v_add_f16_e32 v23, v45, v13
	v_sub_f16_e32 v45, v14, v15
	v_add_f16_e32 v14, v14, v15
	v_sub_f16_e32 v13, v13, v15
	v_fmac_f16_e32 v53, 0xb8b4, v52
	v_add_f16_e32 v54, v23, v15
	v_sub_f16_e32 v15, v16, v18
	v_add_f16_e32 v16, v18, v29
	v_fmamk_f16 v50, v45, 0x3b9c, v43
	v_add_f16_e32 v9, v12, v13
	v_add_f16_e32 v13, v19, v25
	v_fmac_f16_e32 v53, 0x34f2, v33
	v_fmac_f16_e32 v30, -0.5, v16
	v_fmac_f16_e32 v50, 0x38b4, v46
	v_add_f16_e32 v23, v48, v49
	v_add_f16_e32 v24, v54, v55
	;; [unrolled: 1-line block ×3, first 2 shown]
	v_fmamk_f16 v7, v40, 0x3b9c, v30
	v_fmac_f16_e32 v30, 0xbb9c, v40
	v_fmac_f16_e32 v50, 0x34f2, v31
	v_fma_f16 v25, -0.5, v13, v10
	v_pack_b32_f16 v23, v23, v24
	v_add_f16_e32 v56, v53, v42
	v_fmac_f16_e32 v30, 0x38b4, v39
	v_add_f16_e32 v24, v50, v41
	v_add_f16_e32 v21, v21, v27
	v_fmac_f16_e32 v44, -0.5, v14
	v_fmamk_f16 v27, v46, 0xbb9c, v25
	v_fmac_f16_e32 v25, 0x3b9c, v46
	v_fmac_f16_e32 v30, 0x34f2, v12
	v_pack_b32_f16 v24, v24, v56
	v_fmamk_f16 v5, v52, 0x3b9c, v44
	v_fmac_f16_e32 v27, 0x38b4, v45
	v_fmac_f16_e32 v25, 0xb8b4, v45
	;; [unrolled: 1-line block ×4, first 2 shown]
	v_mul_f16_e32 v56, 0xb4f2, v30
	v_fmac_f16_e32 v27, 0x34f2, v21
	v_fmac_f16_e32 v25, 0x34f2, v21
	;; [unrolled: 1-line block ×4, first 2 shown]
	v_mul_f16_e32 v21, 0xb4f2, v1
	v_fmac_f16_e32 v56, 0xbb9c, v1
	v_mul_f16_e32 v1, 0xbb9c, v3
	v_fmac_f16_e32 v5, 0xb8b4, v51
	v_fmac_f16_e32 v44, 0x34f2, v9
	;; [unrolled: 1-line block ×5, first 2 shown]
	v_mul_f16_e32 v7, 0x3b9c, v7
	v_fmac_f16_e32 v5, 0x34f2, v9
	v_add_f16_e32 v9, v44, v56
	v_fmac_f16_e32 v47, 0x3b9c, v51
	v_fmac_f16_e32 v43, 0xb8b4, v46
	;; [unrolled: 1-line block ×3, first 2 shown]
	v_add_f16_e32 v3, v25, v21
	s_delay_alu instid0(VALU_DEP_4) | instskip(NEXT) | instid1(VALU_DEP_4)
	v_fmac_f16_e32 v47, 0x38b4, v52
	v_fmac_f16_e32 v43, 0x34f2, v31
	v_lshrrev_b32_e32 v31, 16, v20
	s_delay_alu instid0(VALU_DEP_4)
	v_pack_b32_f16 v30, v3, v9
	v_add_f16_e32 v3, v5, v1
	v_add_f16_e32 v9, v27, v7
	v_sub_f16_e32 v1, v5, v1
	v_sub_f16_e32 v5, v27, v7
	v_mul_f16_e32 v7, 0xba79, v36
	v_fmac_f16_e32 v47, 0x34f2, v33
	v_pack_b32_f16 v29, v9, v3
	v_mul_lo_u16 v3, v87, 10
	ds_load_2addr_b32 v[9:10], v153 offset0:28 offset1:163
	ds_load_2addr_b32 v[12:13], v209 offset0:70 offset1:205
	;; [unrolled: 1-line block ×5, first 2 shown]
	global_wb scope:SCOPE_SE
	s_wait_dscnt 0x0
	s_barrier_signal -1
	s_barrier_wait -1
	v_and_b32_e32 v3, 0xffff, v3
	global_inv scope:SCOPE_SE
	v_fmac_f16_e32 v7, 0xb8b4, v35
	v_sub_f16_e32 v27, v20, v22
	v_lshlrev_b32_e32 v3, 2, v3
	ds_store_2addr_b64 v3, v[23:24], v[29:30] offset1:1
	v_mov_b32_e32 v57, v3
	v_sub_f16_e32 v3, v50, v41
	v_sub_f16_e32 v23, v53, v42
	v_pack_b32_f16 v24, v5, v1
	v_mul_f16_e32 v5, 0xba79, v35
	v_sub_f16_e32 v1, v48, v49
	v_lshrrev_b32_e32 v34, 16, v18
	v_pack_b32_f16 v23, v3, v23
	v_sub_f16_e32 v3, v54, v55
	v_fmac_f16_e32 v5, 0x38b4, v36
	v_lshrrev_b32_e32 v35, 16, v16
	v_lshrrev_b32_e32 v37, 16, v12
	;; [unrolled: 1-line block ×3, first 2 shown]
	v_pack_b32_f16 v30, v1, v3
	v_add_f16_e32 v1, v43, v5
	v_add_f16_e32 v3, v47, v7
	v_sub_f16_e32 v46, v34, v35
	v_sub_f16_e32 v40, v35, v38
	;; [unrolled: 1-line block ×4, first 2 shown]
	v_pack_b32_f16 v29, v1, v3
	v_sub_f16_e32 v1, v25, v21
	v_sub_f16_e32 v3, v43, v5
	;; [unrolled: 1-line block ×4, first 2 shown]
	v_add_f16_e32 v21, v20, v26
	v_sub_f16_e32 v50, v12, v14
	scratch_store_b32 off, v57, off offset:248 ; 4-byte Folded Spill
	v_pack_b32_f16 v25, v3, v5
	ds_store_2addr_b64 v57, v[29:30], v[23:24] offset0:2 offset1:3
	v_pack_b32_f16 v24, v1, v7
	v_add_f16_e32 v1, v11, v20
	v_add_f16_e32 v3, v22, v28
	v_sub_f16_e32 v5, v22, v20
	v_sub_f16_e32 v20, v18, v12
	ds_store_b64 v57, v[24:25] offset:32
	v_add_f16_e32 v1, v1, v22
	v_fma_f16 v3, -0.5, v3, v11
	v_add_f16_e32 v29, v34, v35
	v_lshrrev_b32_e32 v23, 16, v22
	v_sub_f16_e32 v30, v22, v28
	v_add_f16_e32 v1, v1, v28
	v_lshrrev_b32_e32 v22, 16, v28
	v_sub_f16_e32 v7, v28, v26
	v_sub_f16_e32 v28, v26, v28
	s_delay_alu instid0(VALU_DEP_4)
	v_add_f16_e32 v33, v1, v26
	v_lshrrev_b32_e32 v1, 16, v11
	v_fmac_f16_e32 v11, -0.5, v21
	v_sub_f16_e32 v21, v16, v14
	v_lshrrev_b32_e32 v26, 16, v26
	v_add_f16_e32 v5, v5, v7
	v_add_f16_e32 v43, v1, v31
	v_add_f16_e32 v27, v27, v28
	v_add_f16_e32 v20, v20, v21
	v_lshrrev_b32_e32 v21, 16, v9
	v_sub_f16_e32 v42, v31, v26
	v_add_f16_e32 v7, v31, v26
	v_add_f16_e32 v28, v43, v23
	v_sub_f16_e32 v44, v22, v26
	v_fma_f16 v36, -0.5, v29, v21
	v_add_f16_e32 v29, v37, v38
	v_add_f16_e32 v39, v21, v37
	;; [unrolled: 1-line block ×3, first 2 shown]
	s_delay_alu instid0(VALU_DEP_3) | instskip(SKIP_1) | instid1(VALU_DEP_3)
	v_fmac_f16_e32 v21, -0.5, v29
	v_sub_f16_e32 v29, v34, v37
	v_add_f16_e32 v28, v28, v26
	s_delay_alu instid0(VALU_DEP_2) | instskip(SKIP_1) | instid1(VALU_DEP_1)
	v_add_f16_e32 v29, v29, v40
	v_sub_f16_e32 v40, v23, v22
	v_fmamk_f16 v41, v40, 0xbb9c, v11
	v_fmac_f16_e32 v11, 0x3b9c, v40
	s_delay_alu instid0(VALU_DEP_2) | instskip(NEXT) | instid1(VALU_DEP_2)
	v_fmac_f16_e32 v41, 0x38b4, v42
	v_fmac_f16_e32 v11, 0xb8b4, v42
	s_delay_alu instid0(VALU_DEP_2) | instskip(NEXT) | instid1(VALU_DEP_2)
	v_fmac_f16_e32 v41, 0x34f2, v5
	v_fmac_f16_e32 v11, 0x34f2, v5
	v_add_f16_e32 v5, v23, v22
	v_sub_f16_e32 v22, v26, v22
	v_sub_f16_e32 v26, v38, v35
	s_delay_alu instid0(VALU_DEP_3) | instskip(SKIP_3) | instid1(VALU_DEP_2)
	v_fma_f16 v5, -0.5, v5, v1
	v_fmac_f16_e32 v1, -0.5, v7
	v_sub_f16_e32 v7, v23, v31
	v_sub_f16_e32 v23, v31, v23
	v_add_f16_e32 v7, v7, v44
	s_delay_alu instid0(VALU_DEP_4) | instskip(SKIP_1) | instid1(VALU_DEP_4)
	v_fmamk_f16 v44, v30, 0x3b9c, v1
	v_fmac_f16_e32 v1, 0xbb9c, v30
	v_add_f16_e32 v31, v23, v22
	v_sub_f16_e32 v22, v12, v18
	v_sub_f16_e32 v23, v14, v16
	v_fmac_f16_e32 v44, 0xb8b4, v32
	v_fmac_f16_e32 v1, 0x38b4, v32
	s_delay_alu instid0(VALU_DEP_3) | instskip(SKIP_1) | instid1(VALU_DEP_4)
	v_add_f16_e32 v43, v22, v23
	v_add_f16_e32 v22, v39, v34
	v_fmac_f16_e32 v44, 0x34f2, v7
	s_delay_alu instid0(VALU_DEP_4) | instskip(SKIP_3) | instid1(VALU_DEP_3)
	v_fmac_f16_e32 v1, 0x34f2, v7
	v_add_f16_e32 v7, v12, v14
	v_sub_f16_e32 v23, v37, v34
	v_add_f16_e32 v22, v22, v35
	v_fma_f16 v45, -0.5, v7, v9
	s_delay_alu instid0(VALU_DEP_3) | instskip(NEXT) | instid1(VALU_DEP_3)
	v_add_f16_e32 v34, v23, v26
	v_add_f16_e32 v35, v22, v38
	;; [unrolled: 1-line block ×3, first 2 shown]
	v_fmamk_f16 v23, v50, 0xbb9c, v36
	v_fmamk_f16 v47, v46, 0xbb9c, v45
	v_fmac_f16_e32 v45, 0x3b9c, v46
	v_fmac_f16_e32 v36, 0x3b9c, v50
	v_fma_f16 v37, -0.5, v22, v9
	v_add_f16_e32 v9, v9, v12
	v_fmac_f16_e32 v47, 0x38b4, v48
	v_fmac_f16_e32 v45, 0xb8b4, v48
	;; [unrolled: 1-line block ×3, first 2 shown]
	v_fmamk_f16 v22, v48, 0x3b9c, v37
	v_add_f16_e32 v9, v9, v18
	v_fmac_f16_e32 v47, 0x34f2, v20
	v_fmac_f16_e32 v45, 0x34f2, v20
	v_fmamk_f16 v20, v49, 0x3b9c, v21
	v_fmac_f16_e32 v21, 0xbb9c, v49
	v_fmac_f16_e32 v22, 0x38b4, v46
	v_fmamk_f16 v12, v42, 0x3b9c, v3
	v_fmamk_f16 v18, v32, 0xbb9c, v5
	v_fmac_f16_e32 v20, 0xb8b4, v50
	v_fmac_f16_e32 v21, 0x38b4, v50
	v_fmac_f16_e32 v22, 0x34f2, v43
	v_fmac_f16_e32 v23, 0x34f2, v34
	v_fmac_f16_e32 v12, 0x38b4, v40
	v_fmac_f16_e32 v18, 0xb8b4, v30
	v_fmac_f16_e32 v21, 0x34f2, v29
	v_mul_f16_e32 v26, 0x3a79, v22
	v_mul_f16_e32 v38, 0xb8b4, v22
	v_fmac_f16_e32 v20, 0x34f2, v29
	v_add_f16_e32 v9, v9, v16
	v_mul_f16_e32 v7, 0xb4f2, v21
	v_fmac_f16_e32 v26, 0x38b4, v23
	v_fmac_f16_e32 v38, 0x3a79, v23
	;; [unrolled: 1-line block ×4, first 2 shown]
	v_mul_f16_e32 v29, 0xb4f2, v45
	v_fmac_f16_e32 v7, 0xbb9c, v45
	v_mul_f16_e32 v45, 0x3b9c, v20
	v_add_f16_e32 v14, v9, v14
	v_add_f16_e32 v9, v12, v26
	;; [unrolled: 1-line block ×3, first 2 shown]
	v_fmac_f16_e32 v37, 0xbb9c, v48
	v_fmac_f16_e32 v45, 0x34f2, v47
	v_mul_f16_e32 v47, 0xbb9c, v47
	v_fmac_f16_e32 v36, 0x38b4, v49
	v_pack_b32_f16 v23, v9, v16
	v_add_f16_e32 v9, v33, v14
	v_add_f16_e32 v16, v28, v35
	v_fmac_f16_e32 v47, 0x34f2, v20
	v_fmac_f16_e32 v37, 0xb8b4, v46
	;; [unrolled: 1-line block ×4, first 2 shown]
	v_pack_b32_f16 v22, v9, v16
	v_sub_f16_e32 v9, v12, v26
	v_sub_f16_e32 v16, v18, v38
	;; [unrolled: 1-line block ×4, first 2 shown]
	v_fmac_f16_e32 v5, 0x3b9c, v32
	v_fmac_f16_e32 v37, 0x34f2, v43
	;; [unrolled: 1-line block ×3, first 2 shown]
	v_add_f16_e32 v20, v11, v29
	v_add_f16_e32 v21, v1, v7
	v_pack_b32_f16 v25, v9, v16
	v_sub_f16_e32 v14, v33, v14
	v_sub_f16_e32 v16, v28, v35
	;; [unrolled: 1-line block ×4, first 2 shown]
	v_pack_b32_f16 v26, v12, v18
	v_fmac_f16_e32 v3, 0xb8b4, v40
	v_fmac_f16_e32 v5, 0x38b4, v30
	v_mul_f16_e32 v9, 0xba79, v37
	v_mul_f16_e32 v12, 0xba79, v36
	v_pack_b32_f16 v28, v14, v16
	v_add_co_u32 v16, s2, 0x87, v176
	v_pack_b32_f16 v11, v11, v1
	v_add_f16_e32 v1, v10, v13
	v_fmac_f16_e32 v3, 0x34f2, v27
	v_fmac_f16_e32 v5, 0x34f2, v31
	;; [unrolled: 1-line block ×4, first 2 shown]
	v_pack_b32_f16 v21, v20, v21
	v_add_f16_e32 v20, v41, v45
	v_add_f16_e32 v51, v44, v47
	v_mul_u32_u24_e32 v14, 10, v16
	v_add_f16_e32 v1, v1, v19
	v_add_f16_e32 v18, v3, v9
	;; [unrolled: 1-line block ×3, first 2 shown]
	v_pack_b32_f16 v20, v20, v51
	v_lshlrev_b32_e32 v194, 2, v14
	v_add_f16_e32 v1, v1, v17
	v_sub_f16_e32 v3, v3, v9
	v_pack_b32_f16 v27, v18, v24
	ds_store_2addr_b64 v194, v[22:23], v[20:21] offset1:1
	ds_store_2addr_b64 v194, v[27:28], v[25:26] offset0:2 offset1:3
	v_sub_f16_e32 v5, v5, v12
	v_add_f16_e32 v22, v1, v15
	v_add_f16_e32 v1, v6, v8
	v_sub_f16_e32 v7, v13, v19
	v_sub_f16_e32 v9, v19, v13
	v_pack_b32_f16 v12, v3, v5
	v_lshrrev_b32_e32 v3, 16, v19
	v_add_f16_e32 v5, v19, v17
	v_sub_f16_e32 v14, v19, v17
	v_lshrrev_b32_e32 v18, 16, v17
	v_sub_f16_e32 v19, v15, v17
	v_sub_f16_e32 v17, v17, v15
	v_lshrrev_b32_e32 v20, 16, v13
	v_add_f16_e32 v21, v13, v15
	v_sub_f16_e32 v13, v13, v15
	v_lshrrev_b32_e32 v15, 16, v15
	v_fma_f16 v23, -0.5, v1, v0
	v_add_f16_e32 v1, v2, v4
	v_lshrrev_b32_e32 v24, 16, v0
	v_add_f16_e32 v25, v0, v2
	v_fma_f16 v26, -0.5, v5, v10
	v_add_f16_e32 v5, v9, v17
	v_fmac_f16_e32 v0, -0.5, v1
	v_lshrrev_b32_e32 v1, 16, v10
	v_add_f16_e32 v9, v3, v18
	v_add_f16_e32 v17, v20, v15
	v_fmac_f16_e32 v10, -0.5, v21
	v_sub_f16_e32 v27, v18, v15
	v_add_f16_e32 v21, v1, v20
	v_fma_f16 v9, -0.5, v9, v1
	v_fmac_f16_e32 v1, -0.5, v17
	v_sub_f16_e32 v17, v3, v20
	v_sub_f16_e32 v28, v3, v18
	;; [unrolled: 1-line block ×5, first 2 shown]
	v_add_f16_e32 v17, v17, v27
	v_fmamk_f16 v27, v14, 0x3b9c, v1
	v_fmac_f16_e32 v1, 0xbb9c, v14
	v_fmamk_f16 v29, v28, 0xbb9c, v10
	v_fmac_f16_e32 v10, 0x3b9c, v28
	v_add_f16_e32 v32, v32, v33
	v_sub_f16_e32 v33, v2, v6
	v_fmac_f16_e32 v1, 0x38b4, v13
	v_sub_f16_e32 v35, v6, v8
	v_fmac_f16_e32 v10, 0xb8b4, v30
	v_lshrrev_b32_e32 v36, 16, v2
	v_sub_f16_e32 v37, v2, v4
	v_fmac_f16_e32 v1, 0x34f2, v17
	v_fmac_f16_e32 v27, 0xb8b4, v13
	;; [unrolled: 1-line block ×3, first 2 shown]
	v_add_f16_e32 v42, v24, v36
	v_fmac_f16_e32 v29, 0x38b4, v30
	v_mul_f16_e32 v31, 0xb4f2, v1
	v_fmac_f16_e32 v27, 0x34f2, v17
	v_add_f16_e32 v7, v7, v19
	ds_store_b64 v194, v[11:12] offset:32
	v_fmac_f16_e32 v29, 0x34f2, v5
	v_fmac_f16_e32 v31, 0xbb9c, v10
	v_mul_f16_e32 v10, 0xb4f2, v10
	v_mul_f16_e32 v5, 0x3b9c, v27
	s_wait_alu 0xf1ff
	v_add_co_ci_u32_e64 v34, null, 0, 0, s2
	v_mul_f16_e32 v17, 0xbb9c, v29
	v_fmac_f16_e32 v10, 0x3b9c, v1
	v_add_f16_e32 v1, v25, v6
	v_lshrrev_b32_e32 v25, 16, v6
	v_lshrrev_b32_e32 v6, 16, v8
	v_fmac_f16_e32 v5, 0x34f2, v29
	v_fmac_f16_e32 v17, 0x34f2, v27
	v_add_f16_e32 v1, v1, v8
	v_sub_f16_e32 v8, v4, v8
	v_sub_f16_e32 v39, v25, v6
	v_add_co_u32 v88, s2, 0x195, v176
	s_delay_alu instid0(VALU_DEP_4) | instskip(SKIP_1) | instid1(VALU_DEP_4)
	v_add_f16_e32 v38, v1, v4
	v_lshrrev_b32_e32 v4, 16, v4
	v_fmamk_f16 v40, v39, 0xbb9c, v0
	v_fmac_f16_e32 v0, 0x3b9c, v39
	v_add_f16_e32 v1, v25, v6
	v_add_f16_e32 v8, v33, v8
	v_sub_f16_e32 v41, v36, v4
	v_sub_f16_e32 v2, v6, v4
	s_wait_alu 0xf1ff
	v_add_co_ci_u32_e64 v67, null, 0, 0, s2
	s_delay_alu instid0(VALU_DEP_3) | instskip(SKIP_1) | instid1(VALU_DEP_2)
	v_fmac_f16_e32 v0, 0xb8b4, v41
	v_fmac_f16_e32 v40, 0x38b4, v41
	;; [unrolled: 1-line block ×3, first 2 shown]
	s_delay_alu instid0(VALU_DEP_2) | instskip(SKIP_2) | instid1(VALU_DEP_3)
	v_fmac_f16_e32 v40, 0x34f2, v32
	v_fma_f16 v32, -0.5, v1, v24
	v_add_f16_e32 v1, v36, v4
	v_sub_f16_e32 v11, v40, v5
	s_delay_alu instid0(VALU_DEP_2) | instskip(SKIP_1) | instid1(VALU_DEP_2)
	v_fmac_f16_e32 v24, -0.5, v1
	v_sub_f16_e32 v1, v25, v36
	v_fmamk_f16 v43, v35, 0x3b9c, v24
	v_fmac_f16_e32 v24, 0xbb9c, v35
	s_delay_alu instid0(VALU_DEP_3) | instskip(NEXT) | instid1(VALU_DEP_3)
	v_add_f16_e32 v1, v1, v2
	v_fmac_f16_e32 v43, 0xb8b4, v37
	s_delay_alu instid0(VALU_DEP_3) | instskip(NEXT) | instid1(VALU_DEP_2)
	v_fmac_f16_e32 v24, 0x38b4, v37
	v_fmac_f16_e32 v43, 0x34f2, v1
	s_delay_alu instid0(VALU_DEP_2) | instskip(SKIP_2) | instid1(VALU_DEP_4)
	v_fmac_f16_e32 v24, 0x34f2, v1
	v_add_f16_e32 v1, v0, v10
	v_sub_f16_e32 v0, v0, v10
	v_add_f16_e32 v27, v43, v17
	s_delay_alu instid0(VALU_DEP_4) | instskip(SKIP_2) | instid1(VALU_DEP_3)
	v_add_f16_e32 v2, v24, v31
	v_sub_f16_e32 v12, v43, v17
	v_add_co_u32 v17, null, 0x21c, v176
	v_pack_b32_f16 v2, v1, v2
	v_add_f16_e32 v1, v40, v5
	s_delay_alu instid0(VALU_DEP_1) | instskip(SKIP_2) | instid1(VALU_DEP_2)
	v_pack_b32_f16 v1, v1, v27
	v_add_f16_e32 v27, v42, v25
	v_sub_f16_e32 v25, v36, v25
	v_add_f16_e32 v27, v27, v6
	v_sub_f16_e32 v6, v4, v6
	s_delay_alu instid0(VALU_DEP_2) | instskip(NEXT) | instid1(VALU_DEP_2)
	v_add_f16_e32 v27, v27, v4
	v_add_f16_e32 v25, v25, v6
	;; [unrolled: 1-line block ×3, first 2 shown]
	v_sub_f16_e32 v3, v20, v3
	v_sub_f16_e32 v6, v15, v18
	v_fmamk_f16 v20, v41, 0x3b9c, v23
	v_fmamk_f16 v21, v37, 0xbb9c, v32
	v_add_f16_e32 v4, v4, v18
	v_fmac_f16_e32 v23, 0xbb9c, v41
	v_add_f16_e32 v18, v3, v6
	v_fmamk_f16 v3, v30, 0x3b9c, v26
	v_fmac_f16_e32 v20, 0x38b4, v39
	v_add_f16_e32 v15, v4, v15
	v_fmamk_f16 v4, v13, 0xbb9c, v9
	v_fmac_f16_e32 v21, 0xb8b4, v35
	v_fmac_f16_e32 v3, 0x38b4, v28
	;; [unrolled: 1-line block ×11, first 2 shown]
	v_mul_f16_e32 v6, 0x3a79, v3
	v_mul_f16_e32 v19, 0xb8b4, v3
	v_fmac_f16_e32 v9, 0x38b4, v14
	v_fmac_f16_e32 v26, 0x34f2, v7
	;; [unrolled: 1-line block ×8, first 2 shown]
	v_add_f16_e32 v3, v20, v6
	v_sub_f16_e32 v6, v20, v6
	v_sub_f16_e32 v5, v21, v19
	v_add_f16_e32 v4, v21, v19
	v_sub_f16_e32 v8, v38, v22
	v_fmac_f16_e32 v32, 0x34f2, v25
	v_add_f16_e32 v29, v27, v15
	v_pack_b32_f16 v5, v6, v5
	v_pack_b32_f16 v6, v11, v12
	v_mul_f16_e32 v11, 0xba79, v26
	v_sub_f16_e32 v12, v27, v15
	v_pack_b32_f16 v4, v3, v4
	v_add_f16_e32 v3, v38, v22
	v_and_b32_e32 v35, 0xff, v87
	v_fmac_f16_e32 v11, 0x38b4, v9
	v_mul_f16_e32 v9, 0xba79, v9
	v_pack_b32_f16 v8, v8, v12
	v_mul_u32_u24_e32 v12, 10, v71
	v_pack_b32_f16 v3, v3, v29
	v_add_f16_e32 v7, v23, v11
	v_fmac_f16_e32 v9, 0xb8b4, v26
	v_add_co_u32 v15, null, 0x2a3, v176
	v_lshlrev_b32_e32 v193, 2, v12
	s_delay_alu instid0(VALU_DEP_3) | instskip(NEXT) | instid1(VALU_DEP_1)
	v_add_f16_e32 v13, v32, v9
	v_pack_b32_f16 v7, v7, v13
	ds_store_2addr_b64 v193, v[3:4], v[1:2] offset1:1
	ds_store_2addr_b64 v193, v[7:8], v[5:6] offset0:2 offset1:3
	v_sub_f16_e32 v1, v23, v11
	v_sub_f16_e32 v2, v32, v9
	;; [unrolled: 1-line block ×3, first 2 shown]
	s_delay_alu instid0(VALU_DEP_2) | instskip(NEXT) | instid1(VALU_DEP_2)
	v_pack_b32_f16 v1, v1, v2
	v_pack_b32_f16 v0, v0, v3
	ds_store_b64 v193, v[0:1] offset:32
	v_and_b32_e32 v0, 0xffff, v16
	v_mul_lo_u16 v1, 0xcd, v35
	global_wb scope:SCOPE_SE
	s_wait_storecnt_dscnt 0x0
	s_barrier_signal -1
	s_barrier_wait -1
	v_mul_u32_u24_e32 v0, 0xcccd, v0
	v_lshrrev_b16 v1, 11, v1
	global_inv scope:SCOPE_SE
	v_lshrrev_b32_e32 v36, 19, v0
	v_mul_lo_u16 v0, v1, 10
	v_and_b32_e32 v1, 0xffff, v1
	s_delay_alu instid0(VALU_DEP_3) | instskip(NEXT) | instid1(VALU_DEP_3)
	v_mul_lo_u16 v2, v36, 10
	v_sub_nc_u16 v0, v87, v0
	s_delay_alu instid0(VALU_DEP_3) | instskip(NEXT) | instid1(VALU_DEP_3)
	v_mul_u32_u24_e32 v1, 50, v1
	v_sub_nc_u16 v37, v16, v2
	s_delay_alu instid0(VALU_DEP_3) | instskip(NEXT) | instid1(VALU_DEP_2)
	v_and_b32_e32 v0, 0xff, v0
	v_lshlrev_b16 v2, 2, v37
	s_delay_alu instid0(VALU_DEP_2) | instskip(SKIP_1) | instid1(VALU_DEP_3)
	v_lshlrev_b32_e32 v3, 4, v0
	v_add_lshl_u32 v187, v1, v0, 2
	v_and_b32_e32 v2, 0xffff, v2
	s_delay_alu instid0(VALU_DEP_1)
	v_lshlrev_b32_e32 v2, 2, v2
	s_clause 0x1
	global_load_b128 v[121:124], v3, s[6:7]
	global_load_b128 v[128:131], v2, s[6:7]
	ds_load_2addr_b32 v[26:27], v181 offset0:42 offset1:177
	ds_load_2addr_b32 v[28:29], v178 offset0:84 offset1:219
	;; [unrolled: 1-line block ×4, first 2 shown]
	s_wait_dscnt 0x3
	v_lshrrev_b32_e32 v2, 16, v26
	s_wait_loadcnt 0x1
	v_lshrrev_b32_e32 v3, 16, v121
	v_lshrrev_b32_e32 v4, 16, v122
	;; [unrolled: 1-line block ×4, first 2 shown]
	s_wait_loadcnt 0x0
	v_lshrrev_b32_e32 v162, 16, v128
	v_mul_f16_e32 v41, v26, v3
	s_wait_dscnt 0x2
	v_mul_f16_e32 v42, v28, v4
	s_wait_dscnt 0x1
	;; [unrolled: 2-line block ×3, first 2 shown]
	v_mul_f16_e32 v47, v30, v6
	v_mul_f16_e64 v24, v27, v162
	v_fmac_f16_e32 v41, v2, v121
	v_mul_f16_e32 v2, v2, v3
	v_lshrrev_b32_e32 v3, 16, v28
	v_lshrrev_b32_e32 v163, 16, v129
	;; [unrolled: 1-line block ×4, first 2 shown]
	v_fma_f16 v50, v26, v121, -v2
	ds_load_2addr_b32 v[25:26], v174 offset1:135
	v_fmac_f16_e32 v42, v3, v122
	v_mul_f16_e32 v3, v3, v4
	v_lshrrev_b32_e32 v4, 16, v32
	s_delay_alu instid0(VALU_DEP_2) | instskip(NEXT) | instid1(VALU_DEP_2)
	v_fma_f16 v51, v28, v122, -v3
	v_fmac_f16_e32 v44, v4, v123
	v_mul_f16_e32 v4, v4, v5
	v_lshrrev_b32_e32 v5, 16, v30
	s_delay_alu instid0(VALU_DEP_4) | instskip(NEXT) | instid1(VALU_DEP_4)
	v_sub_f16_e32 v2, v50, v51
	v_sub_f16_e32 v43, v42, v44
	s_delay_alu instid0(VALU_DEP_4) | instskip(NEXT) | instid1(VALU_DEP_4)
	v_fma_f16 v52, v32, v123, -v4
	v_fmac_f16_e32 v47, v5, v124
	v_mul_f16_e32 v5, v5, v6
	s_delay_alu instid0(VALU_DEP_3)
	v_sub_f16_e32 v45, v51, v52
	s_wait_dscnt 0x0
	v_lshrrev_b32_e32 v49, 16, v25
	v_add_f16_e32 v0, v25, v50
	v_fma_f16 v53, v30, v124, -v5
	v_sub_f16_e32 v46, v41, v47
	s_delay_alu instid0(VALU_DEP_4) | instskip(NEXT) | instid1(VALU_DEP_4)
	v_add_f16_e32 v1, v49, v41
	v_add_f16_e32 v0, v0, v51
	s_delay_alu instid0(VALU_DEP_4) | instskip(SKIP_1) | instid1(VALU_DEP_4)
	v_sub_f16_e32 v3, v53, v52
	v_sub_f16_e32 v48, v50, v53
	v_add_f16_e32 v1, v1, v42
	s_delay_alu instid0(VALU_DEP_4) | instskip(NEXT) | instid1(VALU_DEP_4)
	v_add_f16_e32 v0, v0, v52
	v_add_f16_e32 v32, v2, v3
	v_sub_f16_e32 v2, v41, v42
	v_sub_f16_e32 v3, v47, v44
	v_add_f16_e32 v1, v1, v44
	v_add_f16_e32 v0, v0, v53
	s_delay_alu instid0(VALU_DEP_3) | instskip(NEXT) | instid1(VALU_DEP_3)
	v_add_f16_e32 v38, v2, v3
	v_add_f16_e32 v1, v1, v47
	s_delay_alu instid0(VALU_DEP_1) | instskip(SKIP_1) | instid1(VALU_DEP_1)
	v_pack_b32_f16 v54, v0, v1
	v_add_f16_e32 v0, v51, v52
	v_fma_f16 v39, -0.5, v0, v25
	v_add_f16_e32 v0, v42, v44
	s_delay_alu instid0(VALU_DEP_1) | instskip(NEXT) | instid1(VALU_DEP_3)
	v_fma_f16 v40, -0.5, v0, v49
	v_fmamk_f16 v0, v46, 0x3b9c, v39
	v_fmac_f16_e32 v39, 0xbb9c, v46
	s_delay_alu instid0(VALU_DEP_3) | instskip(NEXT) | instid1(VALU_DEP_3)
	v_fmamk_f16 v1, v48, 0xbb9c, v40
	v_fmac_f16_e32 v0, 0x38b4, v43
	v_fmac_f16_e32 v40, 0x3b9c, v48
	s_delay_alu instid0(VALU_DEP_4) | instskip(NEXT) | instid1(VALU_DEP_4)
	v_fmac_f16_e32 v39, 0xb8b4, v43
	v_fmac_f16_e32 v1, 0xb8b4, v45
	s_delay_alu instid0(VALU_DEP_4) | instskip(NEXT) | instid1(VALU_DEP_4)
	;; [unrolled: 3-line block ×3, first 2 shown]
	v_fmac_f16_e32 v39, 0x34f2, v32
	v_fmac_f16_e32 v1, 0x34f2, v38
	s_delay_alu instid0(VALU_DEP_3) | instskip(NEXT) | instid1(VALU_DEP_2)
	v_fmac_f16_e32 v40, 0x34f2, v38
	v_pack_b32_f16 v55, v0, v1
	v_and_b32_e32 v0, 0xffff, v71
	s_delay_alu instid0(VALU_DEP_1) | instskip(NEXT) | instid1(VALU_DEP_1)
	v_mul_u32_u24_e32 v0, 0xcccd, v0
	v_lshrrev_b32_e32 v28, 19, v0
	s_delay_alu instid0(VALU_DEP_1) | instskip(NEXT) | instid1(VALU_DEP_1)
	v_mul_lo_u16 v0, v28, 10
	v_sub_nc_u16 v30, v71, v0
	v_and_b32_e32 v0, 0xffff, v88
	s_delay_alu instid0(VALU_DEP_2) | instskip(NEXT) | instid1(VALU_DEP_2)
	v_lshlrev_b16 v1, 2, v30
	v_mul_u32_u24_e32 v0, 0xcccd, v0
	s_delay_alu instid0(VALU_DEP_2) | instskip(NEXT) | instid1(VALU_DEP_2)
	v_and_b32_e32 v1, 0xffff, v1
	v_lshrrev_b32_e32 v4, 19, v0
	v_and_b32_e32 v0, 0xffff, v17
	s_delay_alu instid0(VALU_DEP_3) | instskip(NEXT) | instid1(VALU_DEP_3)
	v_lshlrev_b32_e32 v19, 2, v1
	v_mul_lo_u16 v2, v4, 10
	s_delay_alu instid0(VALU_DEP_3) | instskip(NEXT) | instid1(VALU_DEP_2)
	v_mul_u32_u24_e32 v0, 0xcccd, v0
	v_sub_nc_u16 v5, v88, v2
	s_delay_alu instid0(VALU_DEP_2) | instskip(SKIP_1) | instid1(VALU_DEP_3)
	v_lshrrev_b32_e32 v6, 19, v0
	v_and_b32_e32 v0, 0xffff, v15
	v_lshlrev_b16 v2, 2, v5
	v_mad_u16 v4, v4, 50, v5
	s_delay_alu instid0(VALU_DEP_3) | instskip(NEXT) | instid1(VALU_DEP_3)
	v_mul_u32_u24_e32 v0, 0xcccd, v0
	v_and_b32_e32 v2, 0xffff, v2
	s_delay_alu instid0(VALU_DEP_3) | instskip(NEXT) | instid1(VALU_DEP_3)
	v_and_b32_e32 v4, 0xffff, v4
	v_lshrrev_b32_e32 v7, 19, v0
	v_mul_lo_u16 v0, v6, 10
	s_delay_alu instid0(VALU_DEP_4) | instskip(NEXT) | instid1(VALU_DEP_4)
	v_lshlrev_b32_e32 v20, 2, v2
	v_lshlrev_b32_e32 v222, 2, v4
	s_delay_alu instid0(VALU_DEP_3) | instskip(SKIP_1) | instid1(VALU_DEP_2)
	v_sub_nc_u16 v12, v17, v0
	v_mul_lo_u16 v0, v7, 10
	v_mad_u16 v6, v6, 50, v12
	s_delay_alu instid0(VALU_DEP_2) | instskip(SKIP_1) | instid1(VALU_DEP_3)
	v_sub_nc_u16 v18, v15, v0
	v_lshlrev_b16 v0, 2, v12
	v_and_b32_e32 v6, 0xffff, v6
	s_delay_alu instid0(VALU_DEP_3) | instskip(NEXT) | instid1(VALU_DEP_3)
	v_lshlrev_b16 v3, 2, v18
	v_and_b32_e32 v0, 0xffff, v0
	s_delay_alu instid0(VALU_DEP_3) | instskip(NEXT) | instid1(VALU_DEP_3)
	v_lshlrev_b32_e32 v225, 2, v6
	v_and_b32_e32 v3, 0xffff, v3
	s_delay_alu instid0(VALU_DEP_3) | instskip(NEXT) | instid1(VALU_DEP_2)
	v_lshlrev_b32_e32 v21, 2, v0
	v_lshlrev_b32_e32 v22, 2, v3
	ds_load_2addr_b32 v[0:1], v185 offset0:14 offset1:149
	ds_load_2addr_b32 v[2:3], v183 offset0:56 offset1:191
	;; [unrolled: 1-line block ×10, first 2 shown]
	s_clause 0x3
	global_load_b128 v[144:147], v19, s[6:7]
	global_load_b128 v[92:95], v20, s[6:7]
	global_load_b128 v[109:112], v21, s[6:7]
	global_load_b128 v[205:208], v22, s[6:7]
	v_add_f16_e32 v21, v50, v53
	v_sub_f16_e32 v19, v51, v50
	v_sub_f16_e32 v20, v52, v53
	;; [unrolled: 1-line block ×3, first 2 shown]
	global_wb scope:SCOPE_SE
	s_wait_loadcnt_dscnt 0x0
	v_fma_f16 v21, -0.5, v21, v25
	s_barrier_signal -1
	v_add_f16_e32 v19, v19, v20
	v_add_f16_e32 v20, v41, v47
	s_barrier_wait -1
	v_fmamk_f16 v23, v43, 0xbb9c, v21
	v_fmac_f16_e32 v21, 0x3b9c, v43
	global_inv scope:SCOPE_SE
	v_fmac_f16_e32 v49, -0.5, v20
	v_sub_f16_e32 v20, v42, v41
	v_fmac_f16_e32 v23, 0x38b4, v46
	v_fmac_f16_e32 v21, 0xb8b4, v46
	v_lshrrev_b32_e32 v42, 16, v31
	ds_store_2addr_b32 v187, v54, v55 offset1:10
	v_lshrrev_b32_e32 v12, 16, v56
	v_fmac_f16_e32 v23, 0x34f2, v19
	v_fmac_f16_e32 v21, 0x34f2, v19
	v_add_f16_e32 v19, v20, v22
	v_fmamk_f16 v20, v45, 0x3b9c, v49
	v_fmac_f16_e32 v49, 0xbb9c, v45
	v_mul_f16_e64 v44, v42, v154
	s_delay_alu instid0(VALU_DEP_3) | instskip(NEXT) | instid1(VALU_DEP_3)
	v_fmac_f16_e32 v20, 0xb8b4, v48
	v_fmac_f16_e32 v49, 0x38b4, v48
	s_delay_alu instid0(VALU_DEP_3) | instskip(SKIP_1) | instid1(VALU_DEP_4)
	v_fma_f16 v44, v31, v131, -v44
	v_mul_f16_e64 v31, v31, v154
	v_fmac_f16_e32 v20, 0x34f2, v19
	s_delay_alu instid0(VALU_DEP_4) | instskip(NEXT) | instid1(VALU_DEP_3)
	v_fmac_f16_e32 v49, 0x34f2, v19
	v_fmac_f16_e64 v31, v42, v131
	s_delay_alu instid0(VALU_DEP_3) | instskip(NEXT) | instid1(VALU_DEP_3)
	v_pack_b32_f16 v19, v23, v20
	v_pack_b32_f16 v20, v21, v49
	ds_store_2addr_b32 v187, v19, v20 offset0:20 offset1:30
	v_lshrrev_b32_e32 v19, 16, v27
	s_delay_alu instid0(VALU_DEP_1) | instskip(SKIP_2) | instid1(VALU_DEP_3)
	v_mul_f16_e64 v20, v19, v162
	v_fmac_f16_e64 v24, v19, v128
	v_lshrrev_b32_e32 v19, 16, v29
	v_fma_f16 v20, v27, v128, -v20
	v_mul_f16_e64 v27, v29, v163
	s_delay_alu instid0(VALU_DEP_3) | instskip(NEXT) | instid1(VALU_DEP_3)
	v_mul_f16_e64 v21, v19, v163
	v_sub_f16_e32 v45, v20, v44
	s_delay_alu instid0(VALU_DEP_3) | instskip(NEXT) | instid1(VALU_DEP_3)
	v_fmac_f16_e64 v27, v19, v129
	v_fma_f16 v25, v29, v129, -v21
	v_lshrrev_b32_e32 v29, 16, v33
	s_delay_alu instid0(VALU_DEP_3) | instskip(NEXT) | instid1(VALU_DEP_3)
	v_sub_f16_e32 v32, v24, v27
	v_sub_f16_e32 v19, v20, v25
	s_delay_alu instid0(VALU_DEP_3) | instskip(NEXT) | instid1(VALU_DEP_1)
	v_mul_f16_e64 v23, v29, v164
	v_fma_f16 v41, v33, v130, -v23
	v_mul_f16_e64 v33, v33, v164
	s_delay_alu instid0(VALU_DEP_2) | instskip(NEXT) | instid1(VALU_DEP_2)
	v_sub_f16_e32 v47, v25, v41
	v_fmac_f16_e64 v33, v29, v130
	v_sub_f16_e32 v29, v44, v41
	s_delay_alu instid0(VALU_DEP_2) | instskip(NEXT) | instid1(VALU_DEP_2)
	v_sub_f16_e32 v38, v31, v33
	v_add_f16_e32 v19, v19, v29
	v_pack_b32_f16 v29, v39, v40
	v_sub_f16_e32 v39, v24, v31
	v_sub_f16_e32 v42, v27, v33
	v_add_f16_e32 v32, v32, v38
	v_add_f16_e32 v43, v27, v33
	ds_store_b32 v187, v29 offset:160
	v_mad_u16 v29, v36, 50, v37
	v_lshrrev_b32_e32 v37, 16, v26
	v_add_f16_e32 v36, v26, v20
	s_delay_alu instid0(VALU_DEP_3) | instskip(NEXT) | instid1(VALU_DEP_3)
	v_and_b32_e32 v29, 0xffff, v29
	v_add_f16_e32 v38, v37, v24
	s_delay_alu instid0(VALU_DEP_3) | instskip(SKIP_1) | instid1(VALU_DEP_4)
	v_add_f16_e32 v36, v36, v25
	v_fma_f16 v43, -0.5, v43, v37
	v_lshlrev_b32_e32 v216, 2, v29
	s_delay_alu instid0(VALU_DEP_4) | instskip(NEXT) | instid1(VALU_DEP_4)
	v_add_f16_e32 v38, v38, v27
	v_add_f16_e32 v36, v36, v41
	v_sub_f16_e32 v27, v27, v24
	v_add_f16_e32 v24, v24, v31
	v_sub_f16_e32 v29, v41, v44
	v_add_f16_e32 v38, v38, v33
	v_add_f16_e32 v36, v36, v44
	v_fmamk_f16 v46, v45, 0xbb9c, v43
	v_fmac_f16_e32 v37, -0.5, v24
	v_fmac_f16_e32 v43, 0x3b9c, v45
	v_add_f16_e32 v38, v38, v31
	v_sub_f16_e32 v31, v33, v31
	v_fmac_f16_e32 v46, 0xb8b4, v47
	s_delay_alu instid0(VALU_DEP_4) | instskip(NEXT) | instid1(VALU_DEP_4)
	v_fmac_f16_e32 v43, 0x38b4, v47
	v_pack_b32_f16 v36, v36, v38
	v_add_f16_e32 v38, v25, v41
	v_sub_f16_e32 v25, v25, v20
	v_add_f16_e32 v20, v20, v44
	v_add_f16_e32 v24, v27, v31
	v_fmamk_f16 v27, v47, 0x3b9c, v37
	v_fma_f16 v38, -0.5, v38, v26
	v_fmac_f16_e32 v37, 0xbb9c, v47
	v_fmac_f16_e32 v26, -0.5, v20
	v_add_f16_e32 v20, v25, v29
	v_fmac_f16_e32 v27, 0xb8b4, v45
	v_fmamk_f16 v40, v39, 0x3b9c, v38
	v_fmac_f16_e32 v37, 0x38b4, v45
	v_fmamk_f16 v25, v42, 0xbb9c, v26
	v_fmac_f16_e32 v26, 0x3b9c, v42
	v_fmac_f16_e32 v27, 0x34f2, v24
	;; [unrolled: 1-line block ×8, first 2 shown]
	v_lshrrev_b32_e32 v24, 16, v8
	v_fmac_f16_e32 v25, 0x34f2, v20
	v_fmac_f16_e32 v26, 0x34f2, v20
	;; [unrolled: 1-line block ×4, first 2 shown]
	v_lshrrev_b32_e32 v19, 16, v2
	v_pack_b32_f16 v20, v25, v27
	v_pack_b32_f16 v26, v26, v37
	v_lshrrev_b32_e32 v29, 16, v13
	v_fmac_f16_e32 v43, 0x34f2, v32
	v_fmac_f16_e32 v46, 0x34f2, v32
	ds_store_2addr_b32 v216, v20, v26 offset0:20 offset1:30
	v_lshrrev_b32_e32 v26, 16, v10
	v_pack_b32_f16 v40, v40, v46
	ds_store_2addr_b32 v216, v36, v40 offset1:10
	v_lshrrev_b32_e32 v143, 16, v144
	v_lshrrev_b32_e32 v126, 16, v145
	;; [unrolled: 1-line block ×5, first 2 shown]
	v_mul_f16_e64 v20, v2, v143
	v_mul_f16_e32 v25, v8, v126
	v_mul_f16_e64 v27, v10, v161
	v_mul_f16_e64 v31, v13, v142
	v_lshrrev_b32_e32 v119, 16, v93
	v_fmac_f16_e64 v20, v19, v144
	v_mul_f16_e64 v19, v19, v143
	v_fmac_f16_e64 v25, v24, v145
	v_mul_f16_e32 v24, v24, v126
	v_fmac_f16_e64 v27, v26, v146
	v_mul_f16_e64 v26, v26, v161
	v_fmac_f16_e64 v31, v29, v147
	v_mul_f16_e64 v29, v29, v142
	v_fma_f16 v2, v2, v144, -v19
	v_fma_f16 v8, v8, v145, -v24
	;; [unrolled: 1-line block ×3, first 2 shown]
	v_sub_f16_e32 v26, v20, v25
	v_fma_f16 v13, v13, v147, -v29
	v_sub_f16_e32 v29, v31, v27
	v_sub_f16_e32 v19, v2, v8
	;; [unrolled: 1-line block ×5, first 2 shown]
	v_add_f16_e32 v26, v26, v29
	v_lshrrev_b32_e32 v29, 16, v0
	v_sub_f16_e32 v32, v20, v31
	v_add_f16_e32 v37, v25, v27
	v_add_f16_e32 v19, v19, v24
	v_pack_b32_f16 v24, v38, v43
	v_sub_f16_e32 v38, v2, v13
	v_lshrrev_b32_e32 v120, 16, v94
	v_fma_f16 v37, -0.5, v37, v29
	v_lshrrev_b32_e32 v117, 16, v95
	ds_store_b32 v216, v24 offset:160
	v_mad_u16 v24, v28, 50, v30
	v_add_f16_e32 v28, v0, v2
	v_add_f16_e32 v30, v29, v20
	v_fmamk_f16 v39, v38, 0xbb9c, v37
	v_fmac_f16_e32 v37, 0x3b9c, v38
	v_and_b32_e32 v24, 0xffff, v24
	v_add_f16_e32 v28, v28, v8
	v_add_f16_e32 v30, v30, v25
	v_fmac_f16_e32 v39, 0xb8b4, v40
	v_fmac_f16_e32 v37, 0x38b4, v40
	v_lshlrev_b32_e32 v220, 2, v24
	v_add_f16_e32 v28, v28, v10
	v_add_f16_e32 v30, v30, v27
	v_fmac_f16_e32 v39, 0x34f2, v26
	v_fmac_f16_e32 v37, 0x34f2, v26
	v_lshrrev_b32_e32 v136, 16, v109
	v_add_f16_e32 v28, v28, v13
	v_add_f16_e32 v30, v30, v31
	v_lshrrev_b32_e32 v139, 16, v110
	v_lshrrev_b32_e32 v140, 16, v111
	;; [unrolled: 1-line block ×4, first 2 shown]
	v_pack_b32_f16 v28, v28, v30
	v_add_f16_e32 v30, v8, v10
	v_sub_f16_e32 v8, v8, v2
	v_add_f16_e32 v2, v2, v13
	v_sub_f16_e32 v10, v10, v13
	v_sub_f16_e32 v13, v27, v31
	v_fma_f16 v30, -0.5, v30, v0
	v_lshrrev_b32_e32 v114, 16, v206
	v_fma_f16 v0, -0.5, v2, v0
	v_add_f16_e32 v8, v8, v10
	v_add_f16_e32 v10, v20, v31
	v_fmamk_f16 v33, v32, 0x3b9c, v30
	v_fmac_f16_e32 v30, 0xbb9c, v32
	v_fmamk_f16 v2, v36, 0xbb9c, v0
	v_fmac_f16_e32 v0, 0x3b9c, v36
	v_fmac_f16_e32 v29, -0.5, v10
	v_sub_f16_e32 v10, v25, v20
	v_lshrrev_b32_e32 v20, 16, v14
	v_fmac_f16_e32 v2, 0x38b4, v32
	v_fmac_f16_e32 v0, 0xb8b4, v32
	;; [unrolled: 1-line block ×4, first 2 shown]
	v_mul_f16_e32 v24, v20, v117
	v_fmac_f16_e32 v2, 0x34f2, v8
	v_fmac_f16_e32 v0, 0x34f2, v8
	v_add_f16_e32 v8, v10, v13
	v_fmamk_f16 v10, v40, 0x3b9c, v29
	v_fmac_f16_e32 v29, 0xbb9c, v40
	v_fma_f16 v24, v14, v95, -v24
	v_mul_f16_e32 v14, v14, v117
	v_fmac_f16_e32 v30, 0x34f2, v19
	v_fmac_f16_e32 v10, 0xb8b4, v38
	;; [unrolled: 1-line block ×5, first 2 shown]
	v_lshrrev_b32_e32 v127, 16, v207
	v_fmac_f16_e32 v10, 0x34f2, v8
	v_fmac_f16_e32 v29, 0x34f2, v8
	v_pack_b32_f16 v33, v33, v39
	v_lshrrev_b32_e32 v125, 16, v208
	s_delay_alu instid0(VALU_DEP_4) | instskip(NEXT) | instid1(VALU_DEP_4)
	v_pack_b32_f16 v2, v2, v10
	v_pack_b32_f16 v0, v0, v29
	v_lshrrev_b32_e32 v10, 16, v11
	ds_store_2addr_b32 v220, v28, v33 offset1:10
	ds_store_2addr_b32 v220, v2, v0 offset0:20 offset1:30
	v_lshrrev_b32_e32 v0, 16, v3
	v_mul_f16_e32 v13, v10, v120
	s_delay_alu instid0(VALU_DEP_2) | instskip(NEXT) | instid1(VALU_DEP_2)
	v_mul_f16_e32 v2, v0, v118
	v_fma_f16 v13, v11, v94, -v13
	v_mul_f16_e32 v11, v11, v120
	s_delay_alu instid0(VALU_DEP_3) | instskip(SKIP_1) | instid1(VALU_DEP_3)
	v_fma_f16 v2, v3, v92, -v2
	v_mul_f16_e32 v3, v3, v118
	v_fmac_f16_e32 v11, v10, v94
	v_sub_f16_e32 v10, v24, v13
	s_delay_alu instid0(VALU_DEP_4) | instskip(NEXT) | instid1(VALU_DEP_4)
	v_add_f16_e32 v5, v1, v2
	v_fmac_f16_e32 v3, v0, v92
	v_lshrrev_b32_e32 v0, 16, v9
	v_sub_f16_e32 v20, v14, v11
	v_sub_f16_e32 v29, v2, v24
	s_delay_alu instid0(VALU_DEP_4) | instskip(NEXT) | instid1(VALU_DEP_4)
	v_sub_f16_e32 v25, v3, v14
	v_mul_f16_e32 v8, v0, v119
	s_delay_alu instid0(VALU_DEP_1) | instskip(SKIP_1) | instid1(VALU_DEP_2)
	v_fma_f16 v8, v9, v93, -v8
	v_mul_f16_e32 v9, v9, v119
	v_add_f16_e32 v5, v5, v8
	s_delay_alu instid0(VALU_DEP_2)
	v_fmac_f16_e32 v9, v0, v93
	v_sub_f16_e32 v0, v2, v8
	v_sub_f16_e32 v31, v8, v13
	;; [unrolled: 1-line block ×3, first 2 shown]
	v_add_f16_e32 v5, v5, v13
	v_sub_f16_e32 v19, v3, v9
	v_add_f16_e32 v0, v0, v10
	v_pack_b32_f16 v10, v30, v37
	v_add_f16_e32 v28, v9, v11
	v_add_f16_e32 v5, v5, v24
	;; [unrolled: 1-line block ×3, first 2 shown]
	v_sub_f16_e32 v27, v9, v11
	ds_store_b32 v220, v10 offset:160
	v_lshrrev_b32_e32 v10, 16, v1
	v_add_f16_e32 v2, v2, v24
	s_delay_alu instid0(VALU_DEP_2) | instskip(SKIP_1) | instid1(VALU_DEP_2)
	v_add_f16_e32 v20, v10, v3
	v_fma_f16 v28, -0.5, v28, v10
	v_add_f16_e32 v20, v20, v9
	s_delay_alu instid0(VALU_DEP_2) | instskip(SKIP_1) | instid1(VALU_DEP_3)
	v_fmamk_f16 v30, v29, 0xbb9c, v28
	v_fmac_f16_e32 v28, 0x3b9c, v29
	v_add_f16_e32 v20, v20, v11
	s_delay_alu instid0(VALU_DEP_3) | instskip(NEXT) | instid1(VALU_DEP_3)
	v_fmac_f16_e32 v30, 0xb8b4, v31
	v_fmac_f16_e32 v28, 0x38b4, v31
	s_delay_alu instid0(VALU_DEP_3) | instskip(NEXT) | instid1(VALU_DEP_3)
	v_add_f16_e32 v20, v20, v14
	v_fmac_f16_e32 v30, 0x34f2, v19
	s_delay_alu instid0(VALU_DEP_3) | instskip(NEXT) | instid1(VALU_DEP_3)
	v_fmac_f16_e32 v28, 0x34f2, v19
	v_pack_b32_f16 v5, v5, v20
	v_add_f16_e32 v20, v8, v13
	v_sub_f16_e32 v8, v9, v3
	v_add_f16_e32 v3, v3, v14
	v_sub_f16_e32 v9, v11, v14
	s_delay_alu instid0(VALU_DEP_4) | instskip(SKIP_1) | instid1(VALU_DEP_4)
	v_fma_f16 v20, -0.5, v20, v1
	v_fmac_f16_e32 v1, -0.5, v2
	v_fmac_f16_e32 v10, -0.5, v3
	s_delay_alu instid0(VALU_DEP_4) | instskip(SKIP_4) | instid1(VALU_DEP_3)
	v_add_f16_e32 v3, v8, v9
	v_lshrrev_b32_e32 v8, 16, v64
	v_fmamk_f16 v26, v25, 0x3b9c, v20
	v_fmac_f16_e32 v20, 0xbb9c, v25
	v_mul_f16_e64 v9, v64, v141
	v_fmac_f16_e32 v26, 0x38b4, v27
	s_delay_alu instid0(VALU_DEP_3) | instskip(NEXT) | instid1(VALU_DEP_3)
	v_fmac_f16_e32 v20, 0xb8b4, v27
	v_fmac_f16_e32 v9, v8, v112
	v_mul_f16_e64 v8, v8, v141
	s_delay_alu instid0(VALU_DEP_4) | instskip(NEXT) | instid1(VALU_DEP_4)
	v_fmac_f16_e32 v26, 0x34f2, v0
	v_fmac_f16_e32 v20, 0x34f2, v0
	v_lshrrev_b32_e32 v0, 16, v58
	s_delay_alu instid0(VALU_DEP_4) | instskip(NEXT) | instid1(VALU_DEP_4)
	v_fma_f16 v8, v64, v112, -v8
	v_pack_b32_f16 v26, v26, v30
	ds_store_2addr_b32 v222, v5, v26 offset1:10
	v_sub_f16_e32 v5, v13, v24
	s_delay_alu instid0(VALU_DEP_1) | instskip(SKIP_4) | instid1(VALU_DEP_4)
	v_add_f16_e32 v2, v4, v5
	v_fmamk_f16 v4, v27, 0xbb9c, v1
	v_fmac_f16_e32 v1, 0x3b9c, v27
	v_fmamk_f16 v5, v31, 0x3b9c, v10
	v_fmac_f16_e32 v10, 0xbb9c, v31
	v_fmac_f16_e32 v4, 0x38b4, v25
	s_delay_alu instid0(VALU_DEP_4) | instskip(NEXT) | instid1(VALU_DEP_4)
	v_fmac_f16_e32 v1, 0xb8b4, v25
	v_fmac_f16_e32 v5, 0xb8b4, v29
	s_delay_alu instid0(VALU_DEP_4) | instskip(NEXT) | instid1(VALU_DEP_4)
	;; [unrolled: 3-line block ×3, first 2 shown]
	v_fmac_f16_e32 v1, 0x34f2, v2
	v_fmac_f16_e32 v5, 0x34f2, v3
	s_delay_alu instid0(VALU_DEP_4) | instskip(SKIP_1) | instid1(VALU_DEP_3)
	v_fmac_f16_e32 v10, 0x34f2, v3
	v_mul_f16_e64 v3, v60, v139
	v_pack_b32_f16 v2, v4, v5
	s_delay_alu instid0(VALU_DEP_3)
	v_pack_b32_f16 v1, v1, v10
	v_lshrrev_b32_e32 v4, 16, v62
	v_mul_f16_e64 v5, v62, v140
	ds_store_2addr_b32 v222, v2, v1 offset0:20 offset1:30
	v_mul_f16_e64 v1, v58, v136
	v_lshrrev_b32_e32 v2, 16, v60
	v_fmac_f16_e32 v5, v4, v111
	v_mul_f16_e64 v4, v4, v140
	s_delay_alu instid0(VALU_DEP_4)
	v_fmac_f16_e32 v1, v0, v109
	v_mul_f16_e64 v0, v0, v136
	v_fmac_f16_e32 v3, v2, v110
	v_mul_f16_e64 v2, v2, v139
	v_fma_f16 v4, v62, v111, -v4
	v_sub_f16_e32 v14, v9, v5
	v_fma_f16 v0, v58, v109, -v0
	v_sub_f16_e32 v13, v1, v3
	;; [unrolled: 2-line block ×3, first 2 shown]
	v_sub_f16_e32 v24, v3, v5
	v_sub_f16_e32 v26, v0, v8
	v_add_f16_e32 v13, v13, v14
	v_sub_f16_e32 v10, v0, v2
	v_add_f16_e32 v14, v12, v1
	v_add_f16_e32 v25, v3, v5
	v_sub_f16_e32 v19, v1, v9
	s_delay_alu instid0(VALU_DEP_4)
	v_add_f16_e32 v10, v10, v11
	v_pack_b32_f16 v11, v20, v28
	v_add_f16_e32 v14, v14, v3
	v_sub_f16_e32 v28, v2, v4
	v_fma_f16 v25, -0.5, v25, v12
	ds_store_b32 v222, v11 offset:160
	v_add_f16_e32 v11, v56, v0
	v_add_f16_e32 v14, v14, v5
	v_fmamk_f16 v27, v26, 0xbb9c, v25
	v_fmac_f16_e32 v25, 0x3b9c, v26
	s_delay_alu instid0(VALU_DEP_4) | instskip(NEXT) | instid1(VALU_DEP_4)
	v_add_f16_e32 v11, v11, v2
	v_add_f16_e32 v14, v14, v9
	s_delay_alu instid0(VALU_DEP_4) | instskip(NEXT) | instid1(VALU_DEP_4)
	v_fmac_f16_e32 v27, 0xb8b4, v28
	v_fmac_f16_e32 v25, 0x38b4, v28
	s_delay_alu instid0(VALU_DEP_4) | instskip(NEXT) | instid1(VALU_DEP_3)
	v_add_f16_e32 v11, v11, v4
	v_fmac_f16_e32 v27, 0x34f2, v13
	s_delay_alu instid0(VALU_DEP_3) | instskip(NEXT) | instid1(VALU_DEP_3)
	v_fmac_f16_e32 v25, 0x34f2, v13
	v_add_f16_e32 v11, v11, v8
	s_delay_alu instid0(VALU_DEP_1)
	v_pack_b32_f16 v11, v11, v14
	v_add_f16_e32 v14, v2, v4
	v_sub_f16_e32 v2, v2, v0
	v_sub_f16_e32 v4, v4, v8
	v_add_f16_e32 v0, v0, v8
	v_mul_f16_e32 v8, v63, v127
	v_fma_f16 v14, -0.5, v14, v56
	s_delay_alu instid0(VALU_DEP_4)
	v_add_f16_e32 v2, v2, v4
	v_add_f16_e32 v4, v1, v9
	v_fma_f16 v0, -0.5, v0, v56
	v_sub_f16_e32 v1, v3, v1
	v_sub_f16_e32 v3, v5, v9
	v_fmamk_f16 v20, v19, 0x3b9c, v14
	v_fmac_f16_e32 v12, -0.5, v4
	v_fmamk_f16 v4, v24, 0xbb9c, v0
	v_fmac_f16_e32 v0, 0x3b9c, v24
	v_add_f16_e32 v1, v1, v3
	v_fmac_f16_e32 v20, 0x38b4, v24
	v_lshrrev_b32_e32 v5, 16, v63
	v_fmac_f16_e32 v4, 0x38b4, v19
	v_fmac_f16_e32 v0, 0xb8b4, v19
	v_lshrrev_b32_e32 v9, 16, v65
	v_fmac_f16_e32 v20, 0x34f2, v10
	v_mul_f16_e32 v6, v5, v127
	v_fmac_f16_e32 v4, 0x34f2, v2
	v_fmac_f16_e32 v0, 0x34f2, v2
	v_fmamk_f16 v2, v28, 0x3b9c, v12
	v_fmac_f16_e32 v12, 0xbb9c, v28
	v_pack_b32_f16 v20, v20, v27
	v_fmac_f16_e32 v14, 0xbb9c, v19
	v_fma_f16 v6, v63, v207, -v6
	v_fmac_f16_e32 v2, 0xb8b4, v26
	v_fmac_f16_e32 v12, 0x38b4, v26
	ds_store_2addr_b32 v225, v11, v20 offset1:10
	v_mul_f16_e32 v11, v9, v125
	v_fmac_f16_e32 v14, 0xb8b4, v24
	v_fmac_f16_e32 v2, 0x34f2, v1
	;; [unrolled: 1-line block ×3, first 2 shown]
	v_fmac_f16_e64 v8, v5, v207
	v_fma_f16 v11, v65, v208, -v11
	v_fmac_f16_e32 v14, 0x34f2, v10
	v_pack_b32_f16 v1, v4, v2
	v_pack_b32_f16 v0, v0, v12
	v_mul_f16_e32 v2, v59, v113
	v_mul_f16_e32 v4, v61, v114
	;; [unrolled: 1-line block ×3, first 2 shown]
	v_sub_f16_e32 v5, v11, v6
	ds_store_2addr_b32 v225, v1, v0 offset0:20 offset1:30
	v_lshrrev_b32_e32 v0, 16, v59
	v_fmac_f16_e64 v12, v9, v208
	s_delay_alu instid0(VALU_DEP_2) | instskip(SKIP_2) | instid1(VALU_DEP_4)
	v_mul_f16_e32 v1, v0, v113
	v_fmac_f16_e64 v2, v0, v205
	v_lshrrev_b32_e32 v0, 16, v61
	v_sub_f16_e32 v10, v12, v8
	s_delay_alu instid0(VALU_DEP_4) | instskip(NEXT) | instid1(VALU_DEP_3)
	v_fma_f16 v1, v59, v205, -v1
	v_mul_f16_e32 v3, v0, v114
	v_fmac_f16_e64 v4, v0, v206
	s_delay_alu instid0(VALU_DEP_3) | instskip(NEXT) | instid1(VALU_DEP_3)
	v_sub_f16_e32 v24, v1, v11
	v_fma_f16 v3, v61, v206, -v3
	s_delay_alu instid0(VALU_DEP_3) | instskip(SKIP_2) | instid1(VALU_DEP_4)
	v_sub_f16_e32 v9, v2, v4
	v_add_f16_e32 v20, v4, v8
	v_sub_f16_e32 v19, v4, v8
	v_sub_f16_e32 v0, v1, v3
	s_delay_alu instid0(VALU_DEP_4) | instskip(SKIP_2) | instid1(VALU_DEP_4)
	v_add_f16_e32 v9, v9, v10
	v_lshrrev_b32_e32 v10, 16, v57
	v_sub_f16_e32 v26, v3, v6
	v_add_f16_e32 v0, v0, v5
	v_pack_b32_f16 v5, v14, v25
	s_delay_alu instid0(VALU_DEP_4)
	v_add_f16_e32 v13, v10, v2
	v_sub_f16_e32 v14, v2, v12
	v_fma_f16 v20, -0.5, v20, v10
	ds_store_b32 v225, v5 offset:160
	v_mad_u16 v5, v7, 50, v18
	v_add_f16_e32 v7, v57, v1
	v_add_f16_e32 v13, v13, v4
	v_fmamk_f16 v25, v24, 0xbb9c, v20
	v_fmac_f16_e32 v20, 0x3b9c, v24
	v_and_b32_e32 v5, 0xffff, v5
	v_add_f16_e32 v7, v7, v3
	v_add_f16_e32 v13, v13, v8
	v_fmac_f16_e32 v25, 0xb8b4, v26
	v_fmac_f16_e32 v20, 0x38b4, v26
	v_sub_f16_e32 v4, v4, v2
	v_add_f16_e32 v7, v7, v6
	v_add_f16_e32 v13, v13, v12
	;; [unrolled: 1-line block ×3, first 2 shown]
	v_fmac_f16_e32 v20, 0x34f2, v9
	v_fmac_f16_e32 v25, 0x34f2, v9
	v_add_f16_e32 v7, v7, v11
	v_lshlrev_b32_e32 v230, 2, v5
	v_sub_f16_e32 v5, v6, v11
	v_fmac_f16_e32 v10, -0.5, v2
	s_delay_alu instid0(VALU_DEP_4) | instskip(SKIP_4) | instid1(VALU_DEP_4)
	v_pack_b32_f16 v7, v7, v13
	v_add_f16_e32 v13, v3, v6
	v_sub_f16_e32 v3, v3, v1
	v_add_f16_e32 v1, v1, v11
	v_sub_f16_e32 v6, v8, v12
	v_fma_f16 v13, -0.5, v13, v57
	s_delay_alu instid0(VALU_DEP_3) | instskip(NEXT) | instid1(VALU_DEP_3)
	v_fmac_f16_e32 v57, -0.5, v1
	v_add_f16_e32 v2, v4, v6
	v_lshrrev_b16 v6, 1, v71
	s_delay_alu instid0(VALU_DEP_4)
	v_fmamk_f16 v18, v14, 0x3b9c, v13
	v_fmac_f16_e32 v13, 0xbb9c, v14
	v_add_f16_e32 v1, v3, v5
	v_fmamk_f16 v3, v19, 0xbb9c, v57
	v_fmac_f16_e32 v57, 0x3b9c, v19
	v_fmac_f16_e32 v18, 0x38b4, v19
	;; [unrolled: 1-line block ×3, first 2 shown]
	v_fmamk_f16 v4, v26, 0x3b9c, v10
	v_fmac_f16_e32 v10, 0xbb9c, v26
	v_and_b32_e32 v6, 0xffff, v6
	v_fmac_f16_e32 v18, 0x34f2, v0
	v_fmac_f16_e32 v13, 0x34f2, v0
	;; [unrolled: 1-line block ×5, first 2 shown]
	v_pack_b32_f16 v18, v18, v25
	v_pack_b32_f16 v0, v13, v20
	v_fmac_f16_e32 v4, 0xb8b4, v24
	v_mul_u32_u24_e32 v8, 0x147b, v6
	v_fmac_f16_e32 v57, 0x34f2, v1
	ds_store_2addr_b32 v230, v7, v18 offset1:10
	ds_store_b32 v230, v0 offset:160
	v_lshrrev_b16 v0, 1, v16
	v_lshrrev_b16 v7, 1, v88
	v_fmac_f16_e32 v10, 0x34f2, v2
	v_fmac_f16_e32 v3, 0x34f2, v1
	;; [unrolled: 1-line block ×3, first 2 shown]
	v_and_b32_e32 v0, 0xffff, v0
	v_and_b32_e32 v7, 0xffff, v7
	v_lshrrev_b32_e32 v12, 17, v8
	v_pack_b32_f16 v5, v57, v10
	v_pack_b32_f16 v1, v3, v4
	v_mul_u32_u24_e32 v0, 0x147b, v0
	v_mul_u32_u24_e32 v8, 0x147b, v7
	ds_store_2addr_b32 v230, v1, v5 offset0:20 offset1:30
	v_lshrrev_b32_e32 v0, 17, v0
	v_lshrrev_b32_e32 v13, 17, v8
	v_mul_lo_u16 v8, v12, 50
	v_mul_lo_u16 v1, v35, 41
	global_wb scope:SCOPE_SE
	s_wait_dscnt 0x0
	v_mul_lo_u16 v2, v0, 50
	s_barrier_signal -1
	v_sub_nc_u16 v19, v71, v8
	v_mul_lo_u16 v8, v13, 50
	v_lshrrev_b16 v1, 11, v1
	v_sub_nc_u16 v4, v16, v2
	s_barrier_wait -1
	global_inv scope:SCOPE_SE
	v_sub_nc_u16 v20, v88, v8
	v_mul_lo_u16 v2, v1, 50
	v_lshlrev_b16 v3, 3, v4
	v_lshlrev_b16 v8, 3, v19
	v_and_b32_e32 v1, 0xffff, v1
	v_lshlrev_b16 v9, 3, v20
	v_sub_nc_u16 v2, v87, v2
	v_and_b32_e32 v3, 0xffff, v3
	v_and_b32_e32 v8, 0xffff, v8
	v_mul_u32_u24_e32 v1, 0x96, v1
	v_and_b32_e32 v10, 0xffff, v9
	v_and_b32_e32 v5, 0xff, v2
	v_add_co_u32 v2, s2, s6, v3
	s_wait_alu 0xf1ff
	v_add_co_ci_u32_e64 v3, null, s7, 0, s2
	v_add_co_u32 v8, s2, s6, v8
	s_wait_alu 0xf1ff
	v_add_co_ci_u32_e64 v9, null, s7, 0, s2
	;; [unrolled: 3-line block ×3, first 2 shown]
	s_clause 0x2
	global_load_b64 v[55:56], v[2:3], off offset:160
	global_load_b64 v[51:52], v[8:9], off offset:160
	;; [unrolled: 1-line block ×3, first 2 shown]
	v_lshlrev_b32_e32 v2, 3, v5
	ds_load_2addr_b32 v[10:11], v174 offset1:135
	v_mad_u16 v0, 0x96, v0, v4
	global_load_b64 v[61:62], v2, s[6:7] offset:160
	v_and_b32_e32 v0, 0xffff, v0
	s_delay_alu instid0(VALU_DEP_1)
	v_lshlrev_b32_e32 v0, 2, v0
	s_wait_dscnt 0x0
	v_lshrrev_b32_e32 v33, 16, v10
	s_wait_loadcnt 0x0
	v_lshrrev_b32_e32 v8, 16, v61
	v_lshrrev_b32_e32 v21, 16, v62
	s_delay_alu instid0(VALU_DEP_2)
	v_mov_b32_e32 v22, v8
	ds_load_2addr_b32 v[2:3], v209 offset0:70 offset1:205
	s_wait_dscnt 0x0
	v_mul_f16_e32 v18, v2, v8
	ds_load_2addr_b32 v[8:9], v180 offset0:12 offset1:147
	v_lshrrev_b32_e32 v14, 16, v2
	s_delay_alu instid0(VALU_DEP_1) | instskip(SKIP_2) | instid1(VALU_DEP_3)
	v_fmac_f16_e32 v18, v14, v61
	v_mul_f16_e32 v14, v14, v22
	v_lshrrev_b32_e32 v22, 16, v55
	v_add_f16_e32 v26, v33, v18
	s_delay_alu instid0(VALU_DEP_3) | instskip(NEXT) | instid1(VALU_DEP_1)
	v_fma_f16 v2, v2, v61, -v14
	v_add_f16_e32 v14, v10, v2
	s_wait_dscnt 0x0
	v_lshrrev_b32_e32 v24, 16, v8
	v_mul_f16_e32 v25, v8, v21
	v_lshrrev_b32_e32 v98, 16, v9
	s_delay_alu instid0(VALU_DEP_2) | instskip(SKIP_2) | instid1(VALU_DEP_3)
	v_fmac_f16_e32 v25, v24, v62
	v_mul_f16_e32 v24, v24, v21
	v_add_lshl_u32 v21, v1, v5, 2
	v_add_f16_e32 v27, v18, v25
	s_delay_alu instid0(VALU_DEP_3) | instskip(SKIP_2) | instid1(VALU_DEP_4)
	v_fma_f16 v8, v8, v62, -v24
	v_sub_f16_e32 v70, v18, v25
	v_add_f16_e32 v18, v26, v25
	v_fmac_f16_e32 v33, -0.5, v27
	s_delay_alu instid0(VALU_DEP_4) | instskip(SKIP_2) | instid1(VALU_DEP_3)
	v_add_f16_e32 v24, v2, v8
	v_sub_f16_e32 v2, v2, v8
	v_add_f16_e32 v14, v14, v8
	v_fma_f16 v5, -0.5, v24, v10
	s_delay_alu instid0(VALU_DEP_3) | instskip(NEXT) | instid1(VALU_DEP_3)
	v_fmamk_f16 v10, v2, 0xbaee, v33
	v_pack_b32_f16 v1, v14, v18
	v_lshrrev_b16 v14, 1, v15
	v_fmac_f16_e32 v33, 0x3aee, v2
	v_fmamk_f16 v8, v70, 0x3aee, v5
	v_fmac_f16_e32 v5, 0xbaee, v70
	v_lshrrev_b32_e32 v2, 16, v11
	v_and_b32_e32 v75, 0xffff, v14
	s_delay_alu instid0(VALU_DEP_4) | instskip(SKIP_2) | instid1(VALU_DEP_2)
	v_pack_b32_f16 v8, v8, v10
	v_lshrrev_b16 v10, 1, v17
	v_pack_b32_f16 v5, v5, v33
	v_and_b32_e32 v74, 0xffff, v10
	s_delay_alu instid0(VALU_DEP_1) | instskip(NEXT) | instid1(VALU_DEP_1)
	v_mul_u32_u24_e32 v10, 0x147b, v74
	v_lshrrev_b32_e32 v10, 17, v10
	s_delay_alu instid0(VALU_DEP_1) | instskip(NEXT) | instid1(VALU_DEP_1)
	v_mul_lo_u16 v14, v10, 50
	v_sub_nc_u16 v76, v17, v14
	v_mul_u32_u24_e32 v14, 0x147b, v75
	s_delay_alu instid0(VALU_DEP_1) | instskip(NEXT) | instid1(VALU_DEP_3)
	v_lshrrev_b32_e32 v77, 17, v14
	v_lshlrev_b16 v14, 3, v76
	s_delay_alu instid0(VALU_DEP_2) | instskip(NEXT) | instid1(VALU_DEP_2)
	v_mul_lo_u16 v18, v77, 50
	v_and_b32_e32 v14, 0xffff, v14
	s_delay_alu instid0(VALU_DEP_2) | instskip(NEXT) | instid1(VALU_DEP_2)
	v_sub_nc_u16 v78, v15, v18
	v_add_co_u32 v25, s2, s6, v14
	s_wait_alu 0xf1ff
	v_add_co_ci_u32_e64 v26, null, s7, 0, s2
	s_delay_alu instid0(VALU_DEP_3) | instskip(SKIP_3) | instid1(VALU_DEP_1)
	v_lshlrev_b16 v14, 3, v78
	v_add_co_u32 v18, null, 0x3b1, v176
	global_load_b64 v[57:58], v[25:26], off offset:160
	v_and_b32_e32 v14, 0xffff, v14
	v_add_co_u32 v25, s2, s6, v14
	v_lshrrev_b16 v14, 1, v96
	s_wait_alu 0xf1ff
	v_add_co_ci_u32_e64 v26, null, s7, 0, s2
	s_delay_alu instid0(VALU_DEP_2) | instskip(SKIP_1) | instid1(VALU_DEP_1)
	v_and_b32_e32 v79, 0xffff, v14
	v_lshrrev_b16 v14, 1, v18
	v_and_b32_e32 v80, 0xffff, v14
	s_delay_alu instid0(VALU_DEP_3) | instskip(NEXT) | instid1(VALU_DEP_1)
	v_mul_u32_u24_e32 v14, 0x147b, v79
	v_lshrrev_b32_e32 v81, 17, v14
	s_delay_alu instid0(VALU_DEP_3) | instskip(NEXT) | instid1(VALU_DEP_1)
	v_mul_u32_u24_e32 v14, 0x147b, v80
	v_lshrrev_b32_e32 v82, 17, v14
	s_delay_alu instid0(VALU_DEP_3) | instskip(NEXT) | instid1(VALU_DEP_1)
	v_mul_lo_u16 v14, v81, 50
	v_sub_nc_u16 v83, v96, v14
	s_delay_alu instid0(VALU_DEP_3) | instskip(NEXT) | instid1(VALU_DEP_1)
	v_mul_lo_u16 v14, v82, 50
	v_sub_nc_u16 v84, v18, v14
	s_delay_alu instid0(VALU_DEP_3) | instskip(NEXT) | instid1(VALU_DEP_2)
	v_lshlrev_b16 v14, 3, v83
	v_lshlrev_b16 v24, 3, v84
	s_delay_alu instid0(VALU_DEP_2) | instskip(NEXT) | instid1(VALU_DEP_2)
	v_and_b32_e32 v14, 0xffff, v14
	v_and_b32_e32 v24, 0xffff, v24
	s_delay_alu instid0(VALU_DEP_2) | instskip(SKIP_2) | instid1(VALU_DEP_3)
	v_add_co_u32 v27, s2, s6, v14
	s_wait_alu 0xf1ff
	v_add_co_ci_u32_e64 v28, null, s7, 0, s2
	v_add_co_u32 v29, s2, s6, v24
	v_add_co_u32 v24, null, 0x438, v176
	s_wait_alu 0xf1ff
	v_add_co_ci_u32_e64 v30, null, s7, 0, s2
	s_delay_alu instid0(VALU_DEP_2) | instskip(NEXT) | instid1(VALU_DEP_1)
	v_lshrrev_b16 v14, 1, v24
	v_and_b32_e32 v85, 0xffff, v14
	v_add_co_u32 v14, null, 0x4bf, v176
	s_delay_alu instid0(VALU_DEP_1) | instskip(NEXT) | instid1(VALU_DEP_1)
	v_lshrrev_b16 v31, 1, v14
	v_and_b32_e32 v86, 0xffff, v31
	s_delay_alu instid0(VALU_DEP_4) | instskip(NEXT) | instid1(VALU_DEP_1)
	v_mul_u32_u24_e32 v31, 0x147b, v85
	v_lshrrev_b32_e32 v89, 17, v31
	s_delay_alu instid0(VALU_DEP_3) | instskip(NEXT) | instid1(VALU_DEP_1)
	v_mul_u32_u24_e32 v31, 0x147b, v86
	v_lshrrev_b32_e32 v90, 17, v31
	s_delay_alu instid0(VALU_DEP_3) | instskip(NEXT) | instid1(VALU_DEP_1)
	v_mul_lo_u16 v31, v89, 50
	v_sub_nc_u16 v91, v24, v31
	s_delay_alu instid0(VALU_DEP_3) | instskip(NEXT) | instid1(VALU_DEP_1)
	v_mul_lo_u16 v31, v90, 50
	v_sub_nc_u16 v97, v14, v31
	s_delay_alu instid0(VALU_DEP_3) | instskip(NEXT) | instid1(VALU_DEP_2)
	v_lshlrev_b16 v31, 3, v91
	v_lshlrev_b16 v32, 3, v97
	s_delay_alu instid0(VALU_DEP_2) | instskip(NEXT) | instid1(VALU_DEP_2)
	v_and_b32_e32 v31, 0xffff, v31
	v_and_b32_e32 v35, 0xffff, v32
	s_delay_alu instid0(VALU_DEP_2) | instskip(SKIP_2) | instid1(VALU_DEP_3)
	v_add_co_u32 v31, s2, s6, v31
	s_wait_alu 0xf1ff
	v_add_co_ci_u32_e64 v32, null, s7, 0, s2
	v_add_co_u32 v35, s2, s6, v35
	s_wait_alu 0xf1ff
	v_add_co_ci_u32_e64 v36, null, s7, 0, s2
	s_clause 0x4
	global_load_b64 v[65:66], v[25:26], off offset:160
	global_load_b64 v[63:64], v[27:28], off offset:160
	global_load_b64 v[59:60], v[29:30], off offset:160
	global_load_b64 v[53:54], v[31:32], off offset:160
	global_load_b64 v[234:235], v[35:36], off offset:160
	ds_load_2addr_b32 v[25:26], v185 offset0:14 offset1:149
	ds_load_2addr_b32 v[27:28], v178 offset0:84 offset1:219
	;; [unrolled: 1-line block ×12, first 2 shown]
	global_wb scope:SCOPE_SE
	s_wait_loadcnt_dscnt 0x0
	s_barrier_signal -1
	s_barrier_wait -1
	global_inv scope:SCOPE_SE
	ds_store_2addr_b32 v21, v1, v8 offset1:50
	v_lshrrev_b32_e32 v1, 16, v3
	ds_store_b32 v21, v5 offset:400
	scratch_store_b32 off, v21, off offset:292 ; 4-byte Folded Spill
	v_mov_b32_e32 v21, v0
	v_mul_f16_e32 v8, v1, v22
	s_delay_alu instid0(VALU_DEP_1) | instskip(SKIP_2) | instid1(VALU_DEP_3)
	v_fma_f16 v8, v3, v55, -v8
	v_mul_f16_e32 v3, v3, v22
	v_lshrrev_b32_e32 v22, 16, v56
	v_add_f16_e32 v70, v11, v8
	s_delay_alu instid0(VALU_DEP_3) | instskip(NEXT) | instid1(VALU_DEP_3)
	v_fmac_f16_e32 v3, v1, v55
	v_mul_f16_e32 v99, v98, v22
	s_delay_alu instid0(VALU_DEP_1) | instskip(SKIP_1) | instid1(VALU_DEP_2)
	v_fma_f16 v99, v9, v56, -v99
	v_mul_f16_e32 v9, v9, v22
	v_add_f16_e32 v1, v8, v99
	s_delay_alu instid0(VALU_DEP_2) | instskip(SKIP_1) | instid1(VALU_DEP_3)
	v_fmac_f16_e32 v9, v98, v56
	v_sub_f16_e32 v8, v8, v99
	v_fmac_f16_e32 v11, -0.5, v1
	s_delay_alu instid0(VALU_DEP_3) | instskip(SKIP_2) | instid1(VALU_DEP_3)
	v_add_f16_e32 v98, v3, v9
	v_add_f16_e32 v1, v2, v3
	v_sub_f16_e32 v3, v3, v9
	v_fmac_f16_e32 v2, -0.5, v98
	s_delay_alu instid0(VALU_DEP_3) | instskip(SKIP_1) | instid1(VALU_DEP_4)
	v_add_f16_e32 v1, v1, v9
	v_add_f16_e32 v9, v70, v99
	v_fmamk_f16 v4, v3, 0x3aee, v11
	v_fmac_f16_e32 v11, 0xbaee, v3
	v_fmamk_f16 v5, v8, 0xbaee, v2
	v_fmac_f16_e32 v2, 0x3aee, v8
	v_pack_b32_f16 v1, v9, v1
	v_lshrrev_b32_e32 v3, 16, v51
	s_delay_alu instid0(VALU_DEP_4) | instskip(SKIP_1) | instid1(VALU_DEP_3)
	v_pack_b32_f16 v4, v4, v5
	v_lshrrev_b32_e32 v5, 16, v25
	v_mov_b32_e32 v22, v3
	ds_store_2addr_b32 v0, v1, v4 offset1:50
	v_pack_b32_f16 v0, v11, v2
	v_lshrrev_b32_e32 v1, 16, v27
	v_mul_f16_e32 v2, v27, v3
	v_lshrrev_b32_e32 v11, 16, v52
	v_lshrrev_b32_e32 v3, 16, v29
	ds_store_b32 v21, v0 offset:400
	v_mad_u16 v0, 0x96, v12, v19
	v_fmac_f16_e32 v2, v1, v51
	v_mul_f16_e32 v4, v29, v11
	v_mul_f16_e32 v1, v1, v22
	v_lshrrev_b32_e32 v12, 16, v233
	v_and_b32_e32 v0, 0xffff, v0
	v_add_f16_e32 v8, v5, v2
	v_fmac_f16_e32 v4, v3, v52
	v_mul_f16_e32 v3, v3, v11
	v_fma_f16 v1, v27, v51, -v1
	v_lshlrev_b32_e32 v0, 2, v0
	v_mul_u32_u24_e32 v27, 0xda75, v79
	v_add_f16_e32 v9, v2, v4
	v_sub_f16_e32 v2, v2, v4
	v_add_f16_e32 v4, v8, v4
	v_fma_f16 v3, v29, v52, -v3
	v_add_f16_e32 v8, v25, v1
	v_fmac_f16_e32 v5, -0.5, v9
	v_mov_b32_e32 v19, v0
	scratch_store_b32 off, v21, off offset:296 ; 4-byte Folded Spill
	v_add_f16_e32 v9, v1, v3
	v_add_f16_e32 v8, v8, v3
	v_sub_f16_e32 v1, v1, v3
	v_lshrrev_b32_e32 v102, 22, v27
	v_mul_u32_u24_e32 v27, 0xda75, v80
	s_delay_alu instid0(VALU_DEP_4)
	v_pack_b32_f16 v3, v8, v4
	v_fma_f16 v4, -0.5, v9, v25
	v_fmamk_f16 v9, v1, 0xbaee, v5
	v_fmac_f16_e32 v5, 0x3aee, v1
	v_lshrrev_b32_e32 v1, 16, v26
	v_lshrrev_b32_e32 v104, 22, v27
	v_fmamk_f16 v8, v2, 0x3aee, v4
	v_fmac_f16_e32 v4, 0xbaee, v2
	s_delay_alu instid0(VALU_DEP_2) | instskip(SKIP_1) | instid1(VALU_DEP_3)
	v_pack_b32_f16 v8, v8, v9
	v_lshrrev_b32_e32 v9, 16, v30
	v_pack_b32_f16 v4, v4, v5
	ds_store_2addr_b32 v0, v3, v8 offset1:50
	v_lshrrev_b32_e32 v0, 16, v28
	v_lshrrev_b32_e32 v8, 16, v232
	v_mul_f16_e32 v11, v9, v12
	v_mul_f16_e32 v12, v30, v12
	ds_store_b32 v19, v4 offset:400
	v_mad_u16 v4, 0x96, v13, v20
	v_mul_f16_e32 v3, v0, v8
	v_mul_f16_e32 v8, v28, v8
	v_fma_f16 v11, v30, v233, -v11
	v_fmac_f16_e64 v12, v9, v233
	v_and_b32_e32 v4, 0xffff, v4
	v_fma_f16 v3, v28, v232, -v3
	v_fmac_f16_e64 v8, v0, v232
	s_delay_alu instid0(VALU_DEP_3) | instskip(NEXT) | instid1(VALU_DEP_3)
	v_lshlrev_b32_e32 v4, 2, v4
	v_add_f16_e32 v0, v3, v11
	v_add_f16_e32 v2, v26, v3
	s_delay_alu instid0(VALU_DEP_4) | instskip(SKIP_1) | instid1(VALU_DEP_4)
	v_add_f16_e32 v9, v8, v12
	v_sub_f16_e32 v3, v3, v11
	v_fmac_f16_e32 v26, -0.5, v0
	v_add_f16_e32 v0, v1, v8
	v_sub_f16_e32 v8, v8, v12
	v_fmac_f16_e32 v1, -0.5, v9
	v_add_f16_e32 v2, v2, v11
	v_mov_b32_e32 v11, v4
	v_add_f16_e32 v0, v0, v12
	scratch_store_b32 off, v19, off offset:300 ; 4-byte Folded Spill
	v_fmamk_f16 v5, v3, 0xbaee, v1
	v_fmac_f16_e32 v1, 0x3aee, v3
	v_pack_b32_f16 v0, v2, v0
	v_fmamk_f16 v2, v8, 0x3aee, v26
	v_fmac_f16_e32 v26, 0xbaee, v8
	s_delay_alu instid0(VALU_DEP_2)
	v_pack_b32_f16 v2, v2, v5
	v_lshrrev_b32_e32 v5, 16, v31
	ds_store_2addr_b32 v4, v0, v2 offset1:50
	v_pack_b32_f16 v0, v26, v1
	v_lshrrev_b32_e32 v1, 16, v35
	ds_store_b32 v11, v0 offset:400
	v_mad_u16 v0, 0x96, v10, v76
	s_delay_alu instid0(VALU_DEP_1) | instskip(NEXT) | instid1(VALU_DEP_1)
	v_and_b32_e32 v0, 0xffff, v0
	v_lshlrev_b32_e32 v0, 2, v0
	v_lshrrev_b32_e32 v3, 16, v57
	v_lshrrev_b32_e32 v12, 16, v58
	s_delay_alu instid0(VALU_DEP_2) | instskip(SKIP_2) | instid1(VALU_DEP_4)
	v_mul_f16_e32 v2, v35, v3
	v_mov_b32_e32 v13, v3
	v_lshrrev_b32_e32 v3, 16, v37
	v_mul_f16_e32 v4, v37, v12
	s_delay_alu instid0(VALU_DEP_4) | instskip(NEXT) | instid1(VALU_DEP_4)
	v_fmac_f16_e32 v2, v1, v57
	v_mul_f16_e32 v1, v1, v13
	s_delay_alu instid0(VALU_DEP_3) | instskip(SKIP_1) | instid1(VALU_DEP_4)
	v_fmac_f16_e32 v4, v3, v58
	v_mul_f16_e32 v3, v3, v12
	v_add_f16_e32 v8, v5, v2
	s_delay_alu instid0(VALU_DEP_4)
	v_fma_f16 v1, v35, v57, -v1
	v_mov_b32_e32 v12, v0
	v_add_f16_e32 v9, v2, v4
	v_sub_f16_e32 v2, v2, v4
	v_add_f16_e32 v4, v8, v4
	v_fma_f16 v3, v37, v58, -v3
	v_add_f16_e32 v8, v31, v1
	v_fmac_f16_e32 v5, -0.5, v9
	scratch_store_b32 off, v11, off offset:304 ; 4-byte Folded Spill
	v_add_f16_e32 v9, v1, v3
	v_add_f16_e32 v8, v8, v3
	v_sub_f16_e32 v1, v1, v3
	s_delay_alu instid0(VALU_DEP_2) | instskip(NEXT) | instid1(VALU_DEP_4)
	v_pack_b32_f16 v3, v8, v4
	v_fma_f16 v4, -0.5, v9, v31
	s_delay_alu instid0(VALU_DEP_3)
	v_fmamk_f16 v9, v1, 0xbaee, v5
	v_fmac_f16_e32 v5, 0x3aee, v1
	v_lshrrev_b32_e32 v1, 16, v32
	v_mul_u32_u24_e32 v31, 0xda75, v85
	v_fmamk_f16 v8, v2, 0x3aee, v4
	v_fmac_f16_e32 v4, 0xbaee, v2
	s_delay_alu instid0(VALU_DEP_3) | instskip(NEXT) | instid1(VALU_DEP_3)
	v_lshrrev_b32_e32 v106, 22, v31
	v_pack_b32_f16 v8, v8, v9
	v_lshrrev_b32_e32 v9, 16, v38
	s_delay_alu instid0(VALU_DEP_4)
	v_pack_b32_f16 v4, v4, v5
	v_mul_u32_u24_e32 v31, 0xda75, v86
	v_mul_lo_u16 v35, 0x96, v106
	ds_store_2addr_b32 v0, v3, v8 offset1:50
	v_lshrrev_b32_e32 v0, 16, v36
	ds_store_b32 v12, v4 offset:400
	v_mad_u16 v4, 0x96, v77, v78
	v_lshrrev_b32_e32 v31, 22, v31
	v_sub_nc_u16 v86, v24, v35
	s_delay_alu instid0(VALU_DEP_3) | instskip(NEXT) | instid1(VALU_DEP_3)
	v_and_b32_e32 v4, 0xffff, v4
	v_mul_lo_u16 v35, 0x96, v31
	s_delay_alu instid0(VALU_DEP_2) | instskip(NEXT) | instid1(VALU_DEP_2)
	v_lshlrev_b32_e32 v4, 2, v4
	v_sub_nc_u16 v115, v14, v35
	v_lshlrev_b16 v35, 3, v86
	s_delay_alu instid0(VALU_DEP_1)
	v_and_b32_e32 v35, 0xffff, v35
	v_lshrrev_b32_e32 v8, 16, v65
	v_lshrrev_b32_e32 v11, 16, v66
	;; [unrolled: 1-line block ×5, first 2 shown]
	v_mul_f16_e32 v3, v0, v8
	v_mul_f16_e32 v10, v9, v11
	v_mul_f16_e32 v8, v36, v8
	v_mul_f16_e32 v11, v38, v11
	v_lshrrev_b32_e32 v221, 16, v60
	v_fma_f16 v3, v36, v65, -v3
	v_fma_f16 v10, v38, v66, -v10
	v_fmac_f16_e32 v8, v0, v65
	v_fmac_f16_e32 v11, v9, v66
	v_lshrrev_b32_e32 v195, 16, v53
	v_add_f16_e32 v2, v32, v3
	v_add_f16_e32 v0, v3, v10
	v_sub_f16_e32 v3, v3, v10
	v_add_f16_e32 v9, v8, v11
	v_lshrrev_b32_e32 v210, 16, v54
	v_add_f16_e32 v2, v2, v10
	v_fmac_f16_e32 v32, -0.5, v0
	v_add_f16_e32 v0, v1, v8
	v_sub_f16_e32 v8, v8, v11
	v_fmac_f16_e32 v1, -0.5, v9
	v_mov_b32_e32 v10, v4
	scratch_store_b32 off, v12, off offset:308 ; 4-byte Folded Spill
	v_add_f16_e32 v0, v0, v11
	v_mul_f16_e64 v11, v44, v221
	v_fmamk_f16 v5, v3, 0xbaee, v1
	v_fmac_f16_e32 v1, 0x3aee, v3
	v_lshrrev_b32_e32 v3, 16, v43
	v_pack_b32_f16 v0, v2, v0
	v_fmamk_f16 v2, v8, 0x3aee, v32
	v_fmac_f16_e32 v32, 0xbaee, v8
	v_lshrrev_b32_e32 v217, 16, v234
	v_lshrrev_b32_e32 v191, 16, v235
	v_lshlrev_b16 v36, 3, v115
	v_pack_b32_f16 v2, v2, v5
	v_lshrrev_b32_e32 v5, 16, v39
	s_delay_alu instid0(VALU_DEP_3)
	v_and_b32_e32 v36, 0xffff, v36
	ds_store_2addr_b32 v4, v0, v2 offset1:50
	v_pack_b32_f16 v0, v32, v1
	v_lshrrev_b32_e32 v1, 16, v41
	v_mul_f16_e64 v2, v41, v250
	v_mul_f16_e64 v4, v43, v253
	ds_store_b32 v10, v0 offset:400
	v_mad_u16 v0, 0x96, v81, v83
	v_fmac_f16_e32 v2, v1, v63
	v_mul_f16_e64 v1, v1, v250
	v_fmac_f16_e32 v4, v3, v64
	v_mul_f16_e64 v3, v3, v253
	v_and_b32_e32 v0, 0xffff, v0
	v_add_f16_e32 v8, v5, v2
	v_fma_f16 v1, v41, v63, -v1
	v_add_f16_e32 v9, v2, v4
	v_sub_f16_e32 v2, v2, v4
	v_fma_f16 v3, v43, v64, -v3
	v_add_f16_e32 v4, v8, v4
	v_add_f16_e32 v8, v39, v1
	v_fmac_f16_e32 v5, -0.5, v9
	v_lshlrev_b32_e32 v0, 2, v0
	v_add_f16_e32 v9, v1, v3
	v_sub_f16_e32 v1, v1, v3
	v_add_f16_e32 v8, v8, v3
	s_delay_alu instid0(VALU_DEP_4)
	v_mov_b32_e32 v12, v0
	scratch_store_b32 off, v10, off offset:312 ; 4-byte Folded Spill
	v_pack_b32_f16 v3, v8, v4
	v_fma_f16 v4, -0.5, v9, v39
	v_fmamk_f16 v9, v1, 0xbaee, v5
	v_fmac_f16_e32 v5, 0x3aee, v1
	v_lshrrev_b32_e32 v1, 16, v40
	s_delay_alu instid0(VALU_DEP_4) | instskip(SKIP_1) | instid1(VALU_DEP_2)
	v_fmamk_f16 v8, v2, 0x3aee, v4
	v_fmac_f16_e32 v4, 0xbaee, v2
	v_pack_b32_f16 v8, v8, v9
	v_lshrrev_b32_e32 v9, 16, v44
	s_delay_alu instid0(VALU_DEP_3)
	v_pack_b32_f16 v4, v4, v5
	ds_store_2addr_b32 v0, v3, v8 offset1:50
	v_lshrrev_b32_e32 v0, 16, v42
	v_mul_f16_e64 v10, v9, v221
	v_mul_f16_e64 v8, v42, v219
	v_fmac_f16_e32 v11, v9, v60
	ds_store_b32 v12, v4 offset:400
	v_mul_f16_e64 v3, v0, v219
	v_fma_f16 v10, v44, v60, -v10
	v_fmac_f16_e32 v8, v0, v59
	v_mad_u16 v4, 0x96, v82, v84
	s_delay_alu instid0(VALU_DEP_4) | instskip(NEXT) | instid1(VALU_DEP_3)
	v_fma_f16 v3, v42, v59, -v3
	v_add_f16_e32 v9, v8, v11
	s_delay_alu instid0(VALU_DEP_3) | instskip(NEXT) | instid1(VALU_DEP_3)
	v_and_b32_e32 v4, 0xffff, v4
	v_add_f16_e32 v0, v3, v10
	v_add_f16_e32 v2, v40, v3
	v_sub_f16_e32 v3, v3, v10
	s_delay_alu instid0(VALU_DEP_4) | instskip(NEXT) | instid1(VALU_DEP_4)
	v_lshlrev_b32_e32 v4, 2, v4
	v_fmac_f16_e32 v40, -0.5, v0
	v_add_f16_e32 v0, v1, v8
	v_sub_f16_e32 v8, v8, v11
	v_fmac_f16_e32 v1, -0.5, v9
	v_add_f16_e32 v2, v2, v10
	v_mov_b32_e32 v10, v4
	v_add_f16_e32 v0, v0, v11
	scratch_store_b32 off, v12, off offset:316 ; 4-byte Folded Spill
	v_fmamk_f16 v5, v3, 0xbaee, v1
	v_fmac_f16_e32 v1, 0x3aee, v3
	scratch_store_b32 off, v10, off offset:320 ; 4-byte Folded Spill
	v_pack_b32_f16 v0, v2, v0
	v_fmamk_f16 v2, v8, 0x3aee, v40
	v_fmac_f16_e32 v40, 0xbaee, v8
	v_lshrrev_b32_e32 v3, 16, v72
	v_mul_f16_e64 v11, v73, v191
	s_delay_alu instid0(VALU_DEP_4)
	v_pack_b32_f16 v2, v2, v5
	v_lshrrev_b32_e32 v5, 16, v45
	ds_store_2addr_b32 v4, v0, v2 offset1:50
	v_pack_b32_f16 v0, v40, v1
	v_lshrrev_b32_e32 v1, 16, v68
	v_mul_f16_e64 v2, v68, v195
	v_mul_f16_e64 v4, v72, v210
	ds_store_b32 v10, v0 offset:400
	v_mad_u16 v0, 0x96, v89, v91
	v_fmac_f16_e32 v2, v1, v53
	v_mul_f16_e64 v1, v1, v195
	v_fmac_f16_e32 v4, v3, v54
	v_mul_f16_e64 v3, v3, v210
	v_and_b32_e32 v0, 0xffff, v0
	v_add_f16_e32 v8, v5, v2
	v_fma_f16 v1, v68, v53, -v1
	v_add_f16_e32 v9, v2, v4
	v_sub_f16_e32 v2, v2, v4
	v_fma_f16 v3, v72, v54, -v3
	v_add_f16_e32 v4, v8, v4
	v_add_f16_e32 v8, v45, v1
	v_fmac_f16_e32 v5, -0.5, v9
	v_lshlrev_b32_e32 v0, 2, v0
	v_add_f16_e32 v9, v1, v3
	v_sub_f16_e32 v1, v1, v3
	v_add_f16_e32 v8, v8, v3
	s_delay_alu instid0(VALU_DEP_4) | instskip(NEXT) | instid1(VALU_DEP_2)
	v_dual_mov_b32 v12, v0 :: v_dual_lshlrev_b32 v89, 3, v176
	v_pack_b32_f16 v3, v8, v4
	v_fma_f16 v4, -0.5, v9, v45
	v_fmamk_f16 v9, v1, 0xbaee, v5
	v_fmac_f16_e32 v5, 0x3aee, v1
	v_lshrrev_b32_e32 v1, 16, v46
	scratch_store_b32 off, v12, off offset:328 ; 4-byte Folded Spill
	v_fmamk_f16 v8, v2, 0x3aee, v4
	v_fmac_f16_e32 v4, 0xbaee, v2
	s_delay_alu instid0(VALU_DEP_2) | instskip(SKIP_1) | instid1(VALU_DEP_3)
	v_pack_b32_f16 v8, v8, v9
	v_lshrrev_b32_e32 v9, 16, v73
	v_pack_b32_f16 v4, v4, v5
	ds_store_2addr_b32 v0, v3, v8 offset1:50
	v_lshrrev_b32_e32 v0, 16, v69
	v_mul_f16_e64 v10, v9, v191
	v_mul_f16_e64 v8, v69, v217
	v_fmac_f16_e64 v11, v9, v235
	ds_store_b32 v12, v4 offset:400
	v_mul_f16_e64 v3, v0, v217
	v_fma_f16 v10, v73, v235, -v10
	v_fmac_f16_e64 v8, v0, v234
	v_mad_u16 v4, 0x96, v90, v97
	s_delay_alu instid0(VALU_DEP_4) | instskip(NEXT) | instid1(VALU_DEP_3)
	v_fma_f16 v3, v69, v234, -v3
	v_add_f16_e32 v9, v8, v11
	s_delay_alu instid0(VALU_DEP_3) | instskip(NEXT) | instid1(VALU_DEP_3)
	v_and_b32_e32 v4, 0xffff, v4
	v_add_f16_e32 v0, v3, v10
	v_add_f16_e32 v2, v46, v3
	v_sub_f16_e32 v3, v3, v10
	s_delay_alu instid0(VALU_DEP_4) | instskip(NEXT) | instid1(VALU_DEP_4)
	v_lshlrev_b32_e32 v4, 2, v4
	v_fmac_f16_e32 v46, -0.5, v0
	v_add_f16_e32 v0, v1, v8
	v_sub_f16_e32 v8, v8, v11
	v_fmac_f16_e32 v1, -0.5, v9
	v_add_f16_e32 v2, v2, v10
	s_delay_alu instid0(VALU_DEP_4) | instskip(NEXT) | instid1(VALU_DEP_3)
	v_add_f16_e32 v0, v0, v11
	v_fmamk_f16 v5, v3, 0xbaee, v1
	v_fmac_f16_e32 v1, 0x3aee, v3
	s_delay_alu instid0(VALU_DEP_3) | instskip(SKIP_2) | instid1(VALU_DEP_2)
	v_pack_b32_f16 v0, v2, v0
	v_fmamk_f16 v2, v8, 0x3aee, v46
	v_fmac_f16_e32 v46, 0xbaee, v8
	v_pack_b32_f16 v2, v2, v5
	v_mov_b32_e32 v5, v4
	ds_store_2addr_b32 v4, v0, v2 offset1:50
	v_pack_b32_f16 v0, v46, v1
	v_add_co_u32 v1, s2, v176, -15
	s_wait_alu 0xf1ff
	v_add_co_ci_u32_e64 v2, null, 0, -1, s2
	ds_store_b32 v5, v0 offset:400
	v_mul_u32_u24_e32 v0, 0xda75, v6
	scratch_store_b32 off, v5, off offset:324 ; 4-byte Folded Spill
	v_dual_cndmask_b32 v3, v2, v34 :: v_dual_cndmask_b32 v2, v1, v16
	v_mul_u32_u24_e32 v1, 0xda75, v7
	v_lshrrev_b32_e32 v0, 22, v0
	global_wb scope:SCOPE_SE
	s_wait_storecnt_dscnt 0x0
	s_barrier_signal -1
	v_lshlrev_b64_e32 v[3:4], 3, v[2:3]
	v_lshrrev_b32_e32 v1, 22, v1
	v_mul_lo_u16 v5, 0x96, v0
	s_barrier_wait -1
	global_inv scope:SCOPE_SE
	v_mul_lo_u16 v6, 0x96, v1
	v_sub_nc_u16 v5, v71, v5
	v_add_co_u32 v3, vcc_lo, s6, v3
	s_wait_alu 0xfffd
	v_add_co_ci_u32_e32 v4, vcc_lo, s7, v4, vcc_lo
	v_sub_nc_u16 v6, v88, v6
	v_lshlrev_b16 v7, 3, v5
	v_cmp_lt_u16_e32 vcc_lo, 14, v87
	v_mad_u16 v0, 0x1c2, v0, v5
	s_delay_alu instid0(VALU_DEP_4) | instskip(NEXT) | instid1(VALU_DEP_4)
	v_lshlrev_b16 v8, 3, v6
	v_and_b32_e32 v7, 0xffff, v7
	v_mad_u16 v1, 0x1c2, v1, v6
	s_delay_alu instid0(VALU_DEP_4) | instskip(NEXT) | instid1(VALU_DEP_4)
	v_and_b32_e32 v0, 0xffff, v0
	v_and_b32_e32 v10, 0xffff, v8
	s_delay_alu instid0(VALU_DEP_4) | instskip(SKIP_2) | instid1(VALU_DEP_3)
	v_add_co_u32 v8, s2, s6, v7
	s_wait_alu 0xf1ff
	v_add_co_ci_u32_e64 v9, null, s7, 0, s2
	v_add_co_u32 v10, s2, s6, v10
	s_wait_alu 0xf1ff
	v_add_co_ci_u32_e64 v11, null, s7, 0, s2
	s_clause 0x3
	global_load_b64 v[251:252], v[3:4], off offset:560
	global_load_b64 v[248:249], v[8:9], off offset:560
	;; [unrolled: 1-line block ×3, first 2 shown]
	global_load_b64 v[200:201], v89, s[6:7] offset:560
	ds_load_2addr_b32 v[3:4], v209 offset0:70 offset1:205
	ds_load_2addr_b32 v[10:11], v174 offset1:135
	v_lshlrev_b32_e32 v0, 2, v0
	v_and_b32_e32 v1, 0xffff, v1
	s_delay_alu instid0(VALU_DEP_1)
	v_lshlrev_b32_e32 v1, 2, v1
	s_wait_dscnt 0x1
	v_lshrrev_b32_e32 v7, 16, v3
	s_wait_dscnt 0x0
	v_lshrrev_b32_e32 v20, 16, v10
	s_wait_loadcnt 0x0
	v_lshrrev_b32_e32 v8, 16, v200
	v_lshrrev_b32_e32 v21, 16, v201
	s_delay_alu instid0(VALU_DEP_2)
	v_mul_f16_e32 v12, v3, v8
	v_mov_b32_e32 v22, v8
	ds_load_2addr_b32 v[8:9], v180 offset0:12 offset1:147
	v_fmac_f16_e64 v12, v7, v200
	v_mul_f16_e32 v7, v7, v22
	v_lshrrev_b32_e32 v22, 16, v252
	s_delay_alu instid0(VALU_DEP_3) | instskip(NEXT) | instid1(VALU_DEP_3)
	v_add_f16_e32 v25, v20, v12
	v_fma_f16 v3, v3, v200, -v7
	s_wait_dscnt 0x0
	v_lshrrev_b32_e32 v13, 16, v8
	v_mul_f16_e32 v19, v8, v21
	s_delay_alu instid0(VALU_DEP_1) | instskip(SKIP_1) | instid1(VALU_DEP_2)
	v_fmac_f16_e64 v19, v13, v201
	v_mul_f16_e32 v13, v13, v21
	v_add_f16_e32 v26, v12, v19
	s_delay_alu instid0(VALU_DEP_2)
	v_fma_f16 v7, v8, v201, -v13
	v_add_f16_e32 v8, v10, v3
	v_sub_f16_e32 v12, v12, v19
	v_add_f16_e32 v19, v25, v19
	v_fmac_f16_e32 v20, -0.5, v26
	v_add_f16_e32 v13, v3, v7
	v_add_f16_e32 v8, v8, v7
	v_sub_f16_e32 v3, v3, v7
	v_mul_u32_u24_e32 v25, 0xda75, v75
	s_delay_alu instid0(VALU_DEP_3) | instskip(SKIP_1) | instid1(VALU_DEP_4)
	v_pack_b32_f16 v7, v8, v19
	v_fma_f16 v8, -0.5, v13, v10
	v_fmamk_f16 v13, v3, 0xbaee, v20
	s_delay_alu instid0(VALU_DEP_4)
	v_lshrrev_b32_e32 v70, 22, v25
	v_fmac_f16_e32 v20, 0x3aee, v3
	v_lshrrev_b32_e32 v3, 16, v11
	v_fmamk_f16 v10, v12, 0x3aee, v8
	v_fmac_f16_e32 v8, 0xbaee, v12
	v_mul_lo_u16 v28, 0x96, v70
	s_delay_alu instid0(VALU_DEP_3) | instskip(SKIP_1) | instid1(VALU_DEP_3)
	v_pack_b32_f16 v10, v10, v13
	v_mul_u32_u24_e32 v13, 0xda75, v74
	v_sub_nc_u16 v101, v15, v28
	v_mul_lo_u16 v28, 0x96, v104
	v_pack_b32_f16 v8, v8, v20
	s_delay_alu instid0(VALU_DEP_4) | instskip(NEXT) | instid1(VALU_DEP_3)
	v_lshrrev_b32_e32 v13, 22, v13
	v_sub_nc_u16 v105, v18, v28
	s_delay_alu instid0(VALU_DEP_2) | instskip(NEXT) | instid1(VALU_DEP_2)
	v_mul_lo_u16 v19, 0x96, v13
	v_lshlrev_b16 v32, 3, v105
	s_delay_alu instid0(VALU_DEP_2) | instskip(NEXT) | instid1(VALU_DEP_2)
	v_sub_nc_u16 v19, v17, v19
	v_and_b32_e32 v32, 0xffff, v32
	s_delay_alu instid0(VALU_DEP_2) | instskip(NEXT) | instid1(VALU_DEP_1)
	v_lshlrev_b16 v26, 3, v19
	v_and_b32_e32 v26, 0xffff, v26
	s_delay_alu instid0(VALU_DEP_1)
	v_add_co_u32 v25, s2, s6, v26
	s_wait_alu 0xf1ff
	v_add_co_ci_u32_e64 v26, null, s7, 0, s2
	global_load_b64 v[239:240], v[25:26], off offset:560
	v_mul_lo_u16 v26, 0x96, v102
	v_lshlrev_b16 v25, 3, v101
	s_delay_alu instid0(VALU_DEP_2) | instskip(NEXT) | instid1(VALU_DEP_2)
	v_sub_nc_u16 v103, v96, v26
	v_and_b32_e32 v25, 0xffff, v25
	s_delay_alu instid0(VALU_DEP_2) | instskip(NEXT) | instid1(VALU_DEP_2)
	v_lshlrev_b16 v27, 3, v103
	v_add_co_u32 v25, s2, s6, v25
	s_wait_alu 0xf1ff
	v_add_co_ci_u32_e64 v26, null, s7, 0, s2
	s_delay_alu instid0(VALU_DEP_3) | instskip(NEXT) | instid1(VALU_DEP_1)
	v_and_b32_e32 v27, 0xffff, v27
	v_add_co_u32 v27, s2, s6, v27
	s_wait_alu 0xf1ff
	v_add_co_ci_u32_e64 v28, null, s7, 0, s2
	v_add_co_u32 v31, s2, s6, v32
	s_wait_alu 0xf1ff
	v_add_co_ci_u32_e64 v32, null, s7, 0, s2
	;; [unrolled: 3-line block ×4, first 2 shown]
	s_clause 0x4
	global_load_b64 v[196:197], v[25:26], off offset:560
	global_load_b64 v[198:199], v[27:28], off offset:560
	;; [unrolled: 1-line block ×5, first 2 shown]
	ds_load_2addr_b32 v[25:26], v185 offset0:14 offset1:149
	ds_load_2addr_b32 v[68:69], v178 offset0:84 offset1:219
	;; [unrolled: 1-line block ×12, first 2 shown]
	global_wb scope:SCOPE_SE
	s_wait_loadcnt_dscnt 0x0
	s_barrier_signal -1
	s_barrier_wait -1
	global_inv scope:SCOPE_SE
	ds_store_2addr_b32 v174, v7, v10 offset1:150
	s_wait_alu 0xfffd
	v_cndmask_b32_e64 v7, 0, 0x1c2, vcc_lo
	v_lshrrev_b32_e32 v10, 16, v251
	ds_store_b32 v174, v8 offset:1200
	v_cmp_gt_u16_e32 vcc_lo, 45, v87
	v_add_lshl_u32 v21, v2, v7, 2
	v_lshrrev_b32_e32 v2, 16, v4
	scratch_store_b32 off, v21, off offset:252 ; 4-byte Folded Spill
	v_mul_f16_e32 v7, v2, v10
	s_delay_alu instid0(VALU_DEP_1) | instskip(SKIP_2) | instid1(VALU_DEP_2)
	v_fma_f16 v7, v4, v251, -v7
	v_mul_f16_e32 v4, v4, v10
	v_lshrrev_b32_e32 v10, 16, v9
	v_fmac_f16_e64 v4, v2, v251
	s_delay_alu instid0(VALU_DEP_2) | instskip(NEXT) | instid1(VALU_DEP_1)
	v_mul_f16_e32 v116, v10, v22
	v_fma_f16 v116, v9, v252, -v116
	v_mul_f16_e32 v9, v9, v22
	s_delay_alu instid0(VALU_DEP_2) | instskip(NEXT) | instid1(VALU_DEP_2)
	v_add_f16_e32 v2, v7, v116
	v_fmac_f16_e64 v9, v10, v252
	v_add_f16_e32 v10, v11, v7
	v_sub_f16_e32 v7, v7, v116
	s_delay_alu instid0(VALU_DEP_4) | instskip(SKIP_3) | instid1(VALU_DEP_3)
	v_fmac_f16_e32 v11, -0.5, v2
	v_add_f16_e32 v2, v3, v4
	v_add_f16_e32 v12, v4, v9
	v_sub_f16_e32 v4, v4, v9
	v_add_f16_e32 v2, v2, v9
	s_delay_alu instid0(VALU_DEP_3) | instskip(SKIP_2) | instid1(VALU_DEP_3)
	v_fmac_f16_e32 v3, -0.5, v12
	v_add_f16_e32 v9, v10, v116
	v_lshrrev_b32_e32 v12, 16, v249
	v_fmamk_f16 v10, v7, 0xbaee, v3
	s_delay_alu instid0(VALU_DEP_3)
	v_pack_b32_f16 v2, v9, v2
	v_fmamk_f16 v9, v4, 0x3aee, v11
	v_fmac_f16_e32 v11, 0xbaee, v4
	v_fmac_f16_e32 v3, 0x3aee, v7
	v_lshrrev_b32_e32 v7, 16, v248
	v_mul_f16_e32 v8, v72, v12
	v_pack_b32_f16 v9, v9, v10
	s_delay_alu instid0(VALU_DEP_3)
	v_mul_f16_e32 v4, v68, v7
	v_mov_b32_e32 v20, v7
	ds_store_2addr_b32 v21, v2, v9 offset1:150
	v_pack_b32_f16 v2, v11, v3
	v_lshrrev_b32_e32 v3, 16, v68
	v_lshrrev_b32_e32 v7, 16, v72
	;; [unrolled: 1-line block ×3, first 2 shown]
	ds_store_b32 v21, v2 offset:1200
	v_fmac_f16_e64 v4, v3, v248
	v_fmac_f16_e64 v8, v7, v249
	v_mul_f16_e32 v3, v3, v20
	v_mul_f16_e32 v7, v7, v12
	v_mov_b32_e32 v12, v0
	v_add_f16_e32 v10, v9, v4
	v_add_f16_e32 v11, v4, v8
	v_fma_f16 v3, v68, v248, -v3
	v_fma_f16 v7, v72, v249, -v7
	v_sub_f16_e32 v4, v4, v8
	v_add_f16_e32 v8, v10, v8
	v_fmac_f16_e32 v9, -0.5, v11
	v_add_f16_e32 v10, v25, v3
	v_add_f16_e32 v11, v3, v7
	v_sub_f16_e32 v3, v3, v7
	s_delay_alu instid0(VALU_DEP_3) | instskip(NEXT) | instid1(VALU_DEP_3)
	v_add_f16_e32 v10, v10, v7
	v_fma_f16 v5, -0.5, v11, v25
	v_lshrrev_b32_e32 v11, 16, v245
	s_delay_alu instid0(VALU_DEP_3) | instskip(NEXT) | instid1(VALU_DEP_3)
	v_pack_b32_f16 v2, v10, v8
	v_fmamk_f16 v7, v4, 0x3aee, v5
	v_fmamk_f16 v8, v3, 0xbaee, v9
	v_fmac_f16_e32 v9, 0x3aee, v3
	v_lshrrev_b32_e32 v3, 16, v26
	v_fmac_f16_e32 v5, 0xbaee, v4
	s_delay_alu instid0(VALU_DEP_4) | instskip(SKIP_1) | instid1(VALU_DEP_3)
	v_pack_b32_f16 v7, v7, v8
	v_lshrrev_b32_e32 v8, 16, v73
	v_pack_b32_f16 v5, v5, v9
	ds_store_2addr_b32 v0, v2, v7 offset1:150
	v_lshrrev_b32_e32 v0, 16, v69
	v_lshrrev_b32_e32 v7, 16, v244
	v_mul_f16_e32 v10, v8, v11
	v_mul_f16_e32 v11, v73, v11
	ds_store_b32 v12, v5 offset:1200
	v_mul_f16_e32 v2, v0, v7
	v_mul_f16_e32 v7, v69, v7
	v_fma_f16 v10, v73, v245, -v10
	v_fmac_f16_e64 v11, v8, v245
	s_delay_alu instid0(VALU_DEP_4) | instskip(NEXT) | instid1(VALU_DEP_4)
	v_fma_f16 v2, v69, v244, -v2
	v_fmac_f16_e64 v7, v0, v244
	s_delay_alu instid0(VALU_DEP_2) | instskip(SKIP_1) | instid1(VALU_DEP_3)
	v_add_f16_e32 v0, v2, v10
	v_add_f16_e32 v4, v26, v2
	;; [unrolled: 1-line block ×3, first 2 shown]
	v_sub_f16_e32 v2, v2, v10
	s_delay_alu instid0(VALU_DEP_4)
	v_fmac_f16_e32 v26, -0.5, v0
	v_add_f16_e32 v0, v3, v7
	v_sub_f16_e32 v7, v7, v11
	v_fmac_f16_e32 v3, -0.5, v8
	v_add_f16_e32 v4, v4, v10
	v_mov_b32_e32 v8, v1
	v_add_f16_e32 v0, v0, v11
	scratch_store_b32 off, v12, off offset:256 ; 4-byte Folded Spill
	v_fmamk_f16 v5, v2, 0xbaee, v3
	v_fmac_f16_e32 v3, 0x3aee, v2
	v_pack_b32_f16 v0, v4, v0
	v_fmamk_f16 v4, v7, 0x3aee, v26
	v_fmac_f16_e32 v26, 0xbaee, v7
	s_delay_alu instid0(VALU_DEP_2)
	v_pack_b32_f16 v4, v4, v5
	v_lshrrev_b32_e32 v5, 16, v74
	ds_store_2addr_b32 v1, v0, v4 offset1:150
	v_pack_b32_f16 v0, v26, v3
	v_lshrrev_b32_e32 v1, 16, v76
	ds_store_b32 v8, v0 offset:1200
	v_mad_u16 v0, 0x1c2, v13, v19
	s_delay_alu instid0(VALU_DEP_1) | instskip(NEXT) | instid1(VALU_DEP_1)
	v_and_b32_e32 v0, 0xffff, v0
	v_lshlrev_b32_e32 v0, 2, v0
	v_lshrrev_b32_e32 v3, 16, v239
	v_lshrrev_b32_e32 v9, 16, v240
	s_delay_alu instid0(VALU_DEP_2) | instskip(SKIP_2) | instid1(VALU_DEP_4)
	v_mul_f16_e32 v2, v76, v3
	v_mov_b32_e32 v10, v3
	v_lshrrev_b32_e32 v3, 16, v78
	v_mul_f16_e32 v4, v78, v9
	s_delay_alu instid0(VALU_DEP_4) | instskip(NEXT) | instid1(VALU_DEP_4)
	v_fmac_f16_e64 v2, v1, v239
	v_mul_f16_e32 v1, v1, v10
	v_mov_b32_e32 v10, v0
	s_delay_alu instid0(VALU_DEP_4)
	v_fmac_f16_e64 v4, v3, v240
	v_mul_f16_e32 v3, v3, v9
	v_add_f16_e32 v6, v5, v2
	v_fma_f16 v1, v76, v239, -v1
	scratch_store_b32 off, v8, off offset:260 ; 4-byte Folded Spill
	v_add_f16_e32 v7, v2, v4
	v_sub_f16_e32 v2, v2, v4
	v_add_f16_e32 v4, v6, v4
	v_fma_f16 v3, v78, v240, -v3
	v_add_f16_e32 v6, v74, v1
	v_fmac_f16_e32 v5, -0.5, v7
	s_delay_alu instid0(VALU_DEP_3) | instskip(NEXT) | instid1(VALU_DEP_3)
	v_add_f16_e32 v7, v1, v3
	v_add_f16_e32 v6, v6, v3
	v_sub_f16_e32 v1, v1, v3
	s_delay_alu instid0(VALU_DEP_2) | instskip(NEXT) | instid1(VALU_DEP_4)
	v_pack_b32_f16 v3, v6, v4
	v_fma_f16 v4, -0.5, v7, v74
	s_delay_alu instid0(VALU_DEP_3)
	v_fmamk_f16 v7, v1, 0xbaee, v5
	v_lshrrev_b32_e32 v9, 16, v197
	v_fmac_f16_e32 v5, 0x3aee, v1
	v_lshrrev_b32_e32 v1, 16, v75
	v_fmamk_f16 v6, v2, 0x3aee, v4
	v_fmac_f16_e32 v4, 0xbaee, v2
	s_delay_alu instid0(VALU_DEP_2) | instskip(SKIP_1) | instid1(VALU_DEP_3)
	v_pack_b32_f16 v6, v6, v7
	v_lshrrev_b32_e32 v7, 16, v79
	v_pack_b32_f16 v4, v4, v5
	ds_store_2addr_b32 v0, v3, v6 offset1:150
	v_lshrrev_b32_e32 v0, 16, v77
	v_lshrrev_b32_e32 v6, 16, v196
	v_mul_f16_e32 v8, v7, v9
	v_mul_f16_e32 v9, v79, v9
	ds_store_b32 v10, v4 offset:1200
	v_mad_u16 v4, 0x1c2, v70, v101
	v_mul_f16_e32 v3, v0, v6
	v_mul_f16_e32 v6, v77, v6
	v_fma_f16 v8, v79, v197, -v8
	v_fmac_f16_e64 v9, v7, v197
	v_and_b32_e32 v4, 0xffff, v4
	v_fma_f16 v3, v77, v196, -v3
	v_fmac_f16_e64 v6, v0, v196
	s_delay_alu instid0(VALU_DEP_3) | instskip(NEXT) | instid1(VALU_DEP_3)
	v_lshlrev_b32_e32 v4, 2, v4
	v_add_f16_e32 v0, v3, v8
	v_add_f16_e32 v2, v75, v3
	s_delay_alu instid0(VALU_DEP_4) | instskip(SKIP_1) | instid1(VALU_DEP_4)
	v_add_f16_e32 v7, v6, v9
	v_sub_f16_e32 v3, v3, v8
	v_fmac_f16_e32 v75, -0.5, v0
	v_add_f16_e32 v0, v1, v6
	v_sub_f16_e32 v6, v6, v9
	v_fmac_f16_e32 v1, -0.5, v7
	v_add_f16_e32 v2, v2, v8
	v_mov_b32_e32 v8, v4
	v_add_f16_e32 v0, v0, v9
	scratch_store_b32 off, v10, off offset:264 ; 4-byte Folded Spill
	v_fmamk_f16 v5, v3, 0xbaee, v1
	v_fmac_f16_e32 v1, 0x3aee, v3
	v_lshrrev_b32_e32 v3, 16, v198
	v_pack_b32_f16 v0, v2, v0
	v_fmamk_f16 v2, v6, 0x3aee, v75
	v_fmac_f16_e32 v75, 0xbaee, v6
	v_lshrrev_b32_e32 v9, 16, v199
	v_mov_b32_e32 v10, v3
	s_delay_alu instid0(VALU_DEP_4)
	v_pack_b32_f16 v2, v2, v5
	v_lshrrev_b32_e32 v5, 16, v80
	ds_store_2addr_b32 v4, v0, v2 offset1:150
	v_pack_b32_f16 v0, v75, v1
	v_lshrrev_b32_e32 v1, 16, v82
	v_mul_f16_e32 v2, v82, v3
	v_lshrrev_b32_e32 v3, 16, v84
	v_mul_f16_e32 v4, v84, v9
	ds_store_b32 v8, v0 offset:1200
	v_mad_u16 v0, 0x1c2, v102, v103
	v_fmac_f16_e64 v2, v1, v198
	v_mul_f16_e32 v1, v1, v10
	v_fmac_f16_e64 v4, v3, v199
	v_mul_f16_e32 v3, v3, v9
	v_and_b32_e32 v0, 0xffff, v0
	v_add_f16_e32 v6, v5, v2
	v_fma_f16 v1, v82, v198, -v1
	v_add_f16_e32 v7, v2, v4
	v_sub_f16_e32 v2, v2, v4
	v_fma_f16 v3, v84, v199, -v3
	v_add_f16_e32 v4, v6, v4
	v_add_f16_e32 v6, v80, v1
	v_fmac_f16_e32 v5, -0.5, v7
	v_lshlrev_b32_e32 v0, 2, v0
	v_add_f16_e32 v7, v1, v3
	v_sub_f16_e32 v1, v1, v3
	v_add_f16_e32 v6, v6, v3
	v_lshrrev_b32_e32 v9, 16, v255
	v_mov_b32_e32 v10, v0
	scratch_store_b32 off, v8, off offset:268 ; 4-byte Folded Spill
	v_pack_b32_f16 v3, v6, v4
	v_fma_f16 v4, -0.5, v7, v80
	v_fmamk_f16 v7, v1, 0xbaee, v5
	v_fmac_f16_e32 v5, 0x3aee, v1
	v_lshrrev_b32_e32 v1, 16, v81
	s_delay_alu instid0(VALU_DEP_4) | instskip(SKIP_1) | instid1(VALU_DEP_2)
	v_fmamk_f16 v6, v2, 0x3aee, v4
	v_fmac_f16_e32 v4, 0xbaee, v2
	v_pack_b32_f16 v6, v6, v7
	v_lshrrev_b32_e32 v7, 16, v85
	s_delay_alu instid0(VALU_DEP_3)
	v_pack_b32_f16 v4, v4, v5
	ds_store_2addr_b32 v0, v3, v6 offset1:150
	v_lshrrev_b32_e32 v0, 16, v83
	v_lshrrev_b32_e32 v6, 16, v254
	v_mul_f16_e32 v8, v7, v9
	v_mul_f16_e32 v9, v85, v9
	ds_store_b32 v10, v4 offset:1200
	v_mad_u16 v4, 0x1c2, v104, v105
	v_mul_f16_e32 v3, v0, v6
	v_mul_f16_e32 v6, v83, v6
	v_fma_f16 v8, v85, v255, -v8
	v_fmac_f16_e64 v9, v7, v255
	v_and_b32_e32 v4, 0xffff, v4
	v_fma_f16 v3, v83, v254, -v3
	v_fmac_f16_e64 v6, v0, v254
	s_delay_alu instid0(VALU_DEP_3) | instskip(NEXT) | instid1(VALU_DEP_3)
	v_lshlrev_b32_e32 v4, 2, v4
	v_add_f16_e32 v0, v3, v8
	v_add_f16_e32 v2, v81, v3
	s_delay_alu instid0(VALU_DEP_4) | instskip(SKIP_1) | instid1(VALU_DEP_4)
	v_add_f16_e32 v7, v6, v9
	v_sub_f16_e32 v3, v3, v8
	v_fmac_f16_e32 v81, -0.5, v0
	v_add_f16_e32 v0, v1, v6
	v_sub_f16_e32 v6, v6, v9
	v_fmac_f16_e32 v1, -0.5, v7
	v_add_f16_e32 v2, v2, v8
	v_mov_b32_e32 v8, v4
	scratch_store_b32 off, v10, off offset:272 ; 4-byte Folded Spill
	v_add_f16_e32 v0, v0, v9
	v_fmamk_f16 v5, v3, 0xbaee, v1
	v_fmac_f16_e32 v1, 0x3aee, v3
	v_lshrrev_b32_e32 v3, 16, v246
	v_lshrrev_b32_e32 v9, 16, v247
	v_pack_b32_f16 v0, v2, v0
	v_fmamk_f16 v2, v6, 0x3aee, v81
	v_fmac_f16_e32 v81, 0xbaee, v6
	v_mov_b32_e32 v10, v3
	s_delay_alu instid0(VALU_DEP_3)
	v_pack_b32_f16 v2, v2, v5
	v_lshrrev_b32_e32 v5, 16, v90
	ds_store_2addr_b32 v4, v0, v2 offset1:150
	v_pack_b32_f16 v0, v81, v1
	v_lshrrev_b32_e32 v1, 16, v97
	v_mul_f16_e32 v2, v97, v3
	v_lshrrev_b32_e32 v3, 16, v99
	v_mul_f16_e32 v4, v99, v9
	ds_store_b32 v8, v0 offset:1200
	v_mad_u16 v0, 0x1c2, v106, v86
	v_fmac_f16_e64 v2, v1, v246
	v_mul_f16_e32 v1, v1, v10
	v_fmac_f16_e64 v4, v3, v247
	v_mul_f16_e32 v3, v3, v9
	v_and_b32_e32 v0, 0xffff, v0
	v_add_f16_e32 v6, v5, v2
	v_fma_f16 v1, v97, v246, -v1
	v_add_f16_e32 v7, v2, v4
	v_sub_f16_e32 v2, v2, v4
	v_fma_f16 v3, v99, v247, -v3
	v_add_f16_e32 v4, v6, v4
	v_add_f16_e32 v6, v90, v1
	v_fmac_f16_e32 v5, -0.5, v7
	v_lshlrev_b32_e32 v0, 2, v0
	v_add_f16_e32 v7, v1, v3
	v_sub_f16_e32 v1, v1, v3
	v_add_f16_e32 v6, v6, v3
	v_lshrrev_b32_e32 v9, 16, v243
	v_mov_b32_e32 v10, v0
	scratch_store_b32 off, v8, off offset:276 ; 4-byte Folded Spill
	v_pack_b32_f16 v3, v6, v4
	v_fma_f16 v4, -0.5, v7, v90
	scratch_store_b32 off, v10, off offset:288 ; 4-byte Folded Spill
	v_fmamk_f16 v7, v1, 0xbaee, v5
	v_fmac_f16_e32 v5, 0x3aee, v1
	v_lshrrev_b32_e32 v1, 16, v91
	v_fmamk_f16 v6, v2, 0x3aee, v4
	v_fmac_f16_e32 v4, 0xbaee, v2
	s_delay_alu instid0(VALU_DEP_2) | instskip(SKIP_1) | instid1(VALU_DEP_3)
	v_pack_b32_f16 v6, v6, v7
	v_lshrrev_b32_e32 v7, 16, v100
	v_pack_b32_f16 v4, v4, v5
	ds_store_2addr_b32 v0, v3, v6 offset1:150
	v_lshrrev_b32_e32 v0, 16, v98
	v_lshrrev_b32_e32 v6, 16, v242
	v_mul_f16_e32 v8, v7, v9
	v_mul_f16_e32 v9, v100, v9
	ds_store_b32 v10, v4 offset:1200
	v_mul_f16_e32 v3, v0, v6
	v_mul_f16_e32 v6, v98, v6
	v_fma_f16 v8, v100, v243, -v8
	v_fmac_f16_e64 v9, v7, v243
	s_delay_alu instid0(VALU_DEP_4) | instskip(NEXT) | instid1(VALU_DEP_4)
	v_fma_f16 v3, v98, v242, -v3
	v_fmac_f16_e64 v6, v0, v242
	s_delay_alu instid0(VALU_DEP_2) | instskip(SKIP_1) | instid1(VALU_DEP_3)
	v_add_f16_e32 v0, v3, v8
	v_add_f16_e32 v2, v91, v3
	;; [unrolled: 1-line block ×3, first 2 shown]
	v_sub_f16_e32 v3, v3, v8
	s_delay_alu instid0(VALU_DEP_4) | instskip(SKIP_4) | instid1(VALU_DEP_4)
	v_fmac_f16_e32 v91, -0.5, v0
	v_add_f16_e32 v0, v1, v6
	v_sub_f16_e32 v6, v6, v9
	v_fmac_f16_e32 v1, -0.5, v7
	v_add_f16_e32 v2, v2, v8
	v_add_f16_e32 v0, v0, v9
	s_delay_alu instid0(VALU_DEP_3) | instskip(SKIP_1) | instid1(VALU_DEP_3)
	v_fmamk_f16 v4, v3, 0xbaee, v1
	v_fmac_f16_e32 v1, 0x3aee, v3
	v_pack_b32_f16 v0, v2, v0
	v_fmamk_f16 v2, v6, 0x3aee, v91
	v_fmac_f16_e32 v91, 0xbaee, v6
	s_delay_alu instid0(VALU_DEP_2) | instskip(SKIP_1) | instid1(VALU_DEP_1)
	v_pack_b32_f16 v2, v2, v4
	v_and_b32_e32 v4, 0xffff, v115
	v_lshlrev_b32_e32 v4, 2, v4
	s_delay_alu instid0(VALU_DEP_1)
	v_add_nc_u32_e32 v5, 0x3800, v4
	s_clause 0x1
	scratch_store_b32 off, v5, off offset:280
	scratch_store_b32 off, v4, off offset:284
	ds_store_2addr_b32 v5, v0, v2 offset0:16 offset1:166
	v_pack_b32_f16 v0, v91, v1
	v_add_co_u32 v1, s2, 0xffffffd3, v176
	s_wait_alu 0xf1ff
	v_add_co_ci_u32_e64 v2, null, 0, -1, s2
	ds_store_b32 v4, v0 offset:15600
	global_wb scope:SCOPE_SE
	s_wait_storecnt_dscnt 0x0
	s_barrier_signal -1
	s_wait_alu 0xfffd
	v_cndmask_b32_e32 v86, v2, v67, vcc_lo
	s_barrier_wait -1
	global_inv scope:SCOPE_SE
	s_clause 0x2
	global_load_b64 v[236:237], v89, s[6:7] offset:1760
	global_load_b64 v[69:70], v89, s[6:7] offset:2480
	;; [unrolled: 1-line block ×3, first 2 shown]
	v_cndmask_b32_e32 v85, v1, v88, vcc_lo
	s_delay_alu instid0(VALU_DEP_1) | instskip(SKIP_1) | instid1(VALU_DEP_2)
	v_lshlrev_b64_e32 v[2:3], 3, v[85:86]
	v_lshlrev_b32_e32 v86, 3, v71
	v_add_co_u32 v81, vcc_lo, s6, v2
	s_wait_alu 0xfffd
	s_delay_alu instid0(VALU_DEP_3)
	v_add_co_ci_u32_e32 v82, vcc_lo, s7, v3, vcc_lo
	ds_load_2addr_b32 v[2:3], v209 offset0:70 offset1:205
	v_cmp_lt_u16_e32 vcc_lo, 44, v87
	s_wait_dscnt 0x0
	v_lshrrev_b32_e32 v0, 16, v2
	v_lshrrev_b32_e32 v5, 16, v3
	s_wait_loadcnt 0x2
	v_lshrrev_b32_e32 v4, 16, v236
	v_lshrrev_b32_e32 v10, 16, v237
	s_wait_loadcnt 0x1
	;; [unrolled: 3-line block ×3, first 2 shown]
	v_lshrrev_b32_e32 v214, 16, v67
	v_mul_f16_e32 v1, v2, v4
	v_mul_f16_e32 v4, v0, v4
	v_lshrrev_b32_e32 v213, 16, v68
	s_delay_alu instid0(VALU_DEP_3) | instskip(SKIP_1) | instid1(VALU_DEP_4)
	v_fmac_f16_e64 v1, v0, v236
	v_lshlrev_b32_e32 v0, 3, v16
	v_fma_f16 v4, v2, v236, -v4
	global_load_b64 v[79:80], v0, s[6:7] offset:1760
	s_wait_loadcnt 0x0
	v_lshrrev_b32_e32 v7, 16, v79
	v_lshrrev_b32_e32 v11, 16, v80
	s_delay_alu instid0(VALU_DEP_2) | instskip(SKIP_1) | instid1(VALU_DEP_2)
	v_mul_f16_e32 v2, v5, v7
	v_mul_f16_e32 v7, v3, v7
	v_fma_f16 v6, v3, v79, -v2
	ds_load_2addr_b32 v[2:3], v180 offset0:12 offset1:147
	v_fmac_f16_e32 v7, v5, v79
	s_wait_dscnt 0x0
	v_lshrrev_b32_e32 v8, 16, v2
	v_mul_f16_e32 v9, v2, v10
	v_mul_f16_e32 v13, v3, v11
	s_delay_alu instid0(VALU_DEP_2) | instskip(SKIP_2) | instid1(VALU_DEP_3)
	v_fmac_f16_e64 v9, v8, v237
	v_mul_f16_e32 v8, v8, v10
	v_lshrrev_b32_e32 v10, 16, v3
	v_add_f16_e32 v16, v1, v9
	s_delay_alu instid0(VALU_DEP_3) | instskip(NEXT) | instid1(VALU_DEP_3)
	v_fma_f16 v8, v2, v237, -v8
	v_mul_f16_e32 v2, v10, v11
	v_fmac_f16_e32 v13, v10, v80
	s_delay_alu instid0(VALU_DEP_3) | instskip(NEXT) | instid1(VALU_DEP_3)
	v_add_f16_e32 v20, v4, v8
	v_fma_f16 v12, v3, v80, -v2
	ds_load_2addr_b32 v[2:3], v174 offset1:135
	s_wait_dscnt 0x0
	v_lshrrev_b32_e32 v11, 16, v2
	v_add_f16_e32 v5, v3, v6
	s_delay_alu instid0(VALU_DEP_2)
	v_add_f16_e32 v19, v11, v1
	v_fmac_f16_e32 v11, -0.5, v16
	v_add_f16_e32 v16, v2, v4
	v_fma_f16 v2, -0.5, v20, v2
	v_sub_f16_e32 v1, v1, v9
	v_sub_f16_e32 v4, v4, v8
	v_add_f16_e32 v5, v5, v12
	v_add_f16_e32 v16, v16, v8
	s_delay_alu instid0(VALU_DEP_4) | instskip(SKIP_4) | instid1(VALU_DEP_3)
	v_fmamk_f16 v8, v1, 0x3aee, v2
	v_fmac_f16_e32 v2, 0xbaee, v1
	v_add_f16_e32 v1, v19, v9
	v_fmamk_f16 v9, v4, 0xbaee, v11
	v_fmac_f16_e32 v11, 0x3aee, v4
	v_pack_b32_f16 v1, v16, v1
	v_lshrrev_b32_e32 v16, 16, v3
	s_delay_alu instid0(VALU_DEP_4) | instskip(SKIP_2) | instid1(VALU_DEP_4)
	v_pack_b32_f16 v4, v8, v9
	v_and_b32_e32 v9, 0xffff, v18
	v_pack_b32_f16 v2, v2, v11
	v_add_f16_e32 v8, v16, v7
	s_delay_alu instid0(VALU_DEP_3) | instskip(NEXT) | instid1(VALU_DEP_2)
	v_mul_u32_u24_e32 v9, 0x91a3, v9
	v_add_f16_e32 v8, v8, v13
	s_delay_alu instid0(VALU_DEP_1) | instskip(SKIP_1) | instid1(VALU_DEP_1)
	v_pack_b32_f16 v5, v5, v8
	v_and_b32_e32 v8, 0xffff, v96
	v_mul_u32_u24_e32 v8, 0x91a3, v8
	s_delay_alu instid0(VALU_DEP_1) | instskip(SKIP_1) | instid1(VALU_DEP_2)
	v_lshrrev_b32_e32 v19, 24, v8
	v_lshrrev_b32_e32 v8, 24, v9
	v_mul_lo_u16 v9, 0x1c2, v19
	s_delay_alu instid0(VALU_DEP_2) | instskip(NEXT) | instid1(VALU_DEP_2)
	v_mul_lo_u16 v8, 0x1c2, v8
	v_sub_nc_u16 v20, v96, v9
	v_and_b32_e32 v9, 0xffff, v24
	s_delay_alu instid0(VALU_DEP_3) | instskip(NEXT) | instid1(VALU_DEP_3)
	v_sub_nc_u16 v25, v18, v8
	v_lshlrev_b16 v10, 3, v20
	s_delay_alu instid0(VALU_DEP_3) | instskip(NEXT) | instid1(VALU_DEP_3)
	v_mul_u32_u24_e32 v9, 0x91a3, v9
	v_lshlrev_b16 v11, 3, v25
	s_delay_alu instid0(VALU_DEP_3) | instskip(NEXT) | instid1(VALU_DEP_3)
	v_and_b32_e32 v10, 0xffff, v10
	v_lshrrev_b32_e32 v8, 24, v9
	v_and_b32_e32 v9, 0xffff, v14
	s_delay_alu instid0(VALU_DEP_4) | instskip(NEXT) | instid1(VALU_DEP_3)
	v_and_b32_e32 v11, 0xffff, v11
	v_mul_lo_u16 v72, 0x1c2, v8
	s_delay_alu instid0(VALU_DEP_3) | instskip(SKIP_1) | instid1(VALU_DEP_3)
	v_mul_u32_u24_e32 v9, 0x91a3, v9
	v_add_co_u32 v8, s2, s6, v10
	v_sub_nc_u16 v101, v24, v72
	s_delay_alu instid0(VALU_DEP_3) | instskip(SKIP_3) | instid1(VALU_DEP_3)
	v_lshrrev_b32_e32 v73, 24, v9
	s_wait_alu 0xf1ff
	v_add_co_ci_u32_e64 v9, null, s7, 0, s2
	v_add_co_u32 v10, s2, s6, v11
	v_mul_lo_u16 v72, 0x1c2, v73
	s_wait_alu 0xf1ff
	v_add_co_ci_u32_e64 v11, null, s7, 0, s2
	s_delay_alu instid0(VALU_DEP_2) | instskip(SKIP_1) | instid1(VALU_DEP_2)
	v_sub_nc_u16 v102, v14, v72
	v_lshlrev_b16 v72, 3, v101
	v_lshlrev_b16 v73, 3, v102
	s_delay_alu instid0(VALU_DEP_2) | instskip(NEXT) | instid1(VALU_DEP_2)
	v_and_b32_e32 v72, 0xffff, v72
	v_and_b32_e32 v74, 0xffff, v73
	s_delay_alu instid0(VALU_DEP_2) | instskip(SKIP_2) | instid1(VALU_DEP_3)
	v_add_co_u32 v72, s2, s6, v72
	s_wait_alu 0xf1ff
	v_add_co_ci_u32_e64 v73, null, s7, 0, s2
	v_add_co_u32 v83, s2, s6, v74
	s_wait_alu 0xf1ff
	v_add_co_ci_u32_e64 v84, null, s7, 0, s2
	s_clause 0x5
	global_load_b64 v[77:78], v[8:9], off offset:1760
	global_load_b64 v[75:76], v[10:11], off offset:1760
	global_load_b64 v[73:74], v[72:73], off offset:1760
	global_load_b64 v[71:72], v[83:84], off offset:1760
	global_load_b64 v[81:82], v[81:82], off offset:1760
	global_load_b64 v[83:84], v86, s[6:7] offset:1760
	ds_load_2addr_b32 v[8:9], v185 offset0:14 offset1:149
	ds_load_2addr_b32 v[10:11], v178 offset0:84 offset1:219
	;; [unrolled: 1-line block ×12, first 2 shown]
	global_wb scope:SCOPE_SE
	s_wait_loadcnt_dscnt 0x0
	s_barrier_signal -1
	s_barrier_wait -1
	global_inv scope:SCOPE_SE
	ds_store_b32 v174, v4 offset:1800
	ds_store_b32 v174, v2 offset:3600
	ds_store_2addr_b32 v174, v1, v5 offset1:135
	v_add_f16_e32 v1, v6, v12
	v_sub_f16_e32 v2, v7, v13
	s_add_nc_u64 s[2:3], s[4:5], 0x3f48
	s_delay_alu instid0(VALU_DEP_2) | instskip(SKIP_2) | instid1(VALU_DEP_3)
	v_fmac_f16_e32 v3, -0.5, v1
	v_add_f16_e32 v1, v7, v13
	v_mul_f16_e64 v87, v104, v213
	v_fmamk_f16 v4, v2, 0x3aee, v3
	s_delay_alu instid0(VALU_DEP_3) | instskip(SKIP_4) | instid1(VALU_DEP_4)
	v_fmac_f16_e32 v16, -0.5, v1
	v_sub_f16_e32 v1, v6, v12
	v_fmac_f16_e32 v3, 0xbaee, v2
	v_lshrrev_b32_e32 v6, 16, v90
	v_lshrrev_b32_e32 v12, 16, v8
	v_fmamk_f16 v2, v1, 0xbaee, v16
	v_fmac_f16_e32 v16, 0x3aee, v1
	s_delay_alu instid0(VALU_DEP_2) | instskip(NEXT) | instid1(VALU_DEP_2)
	v_pack_b32_f16 v2, v4, v2
	v_pack_b32_f16 v1, v3, v16
	v_lshrrev_b32_e32 v3, 16, v10
	v_lshrrev_b32_e32 v229, 16, v77
	;; [unrolled: 1-line block ×11, first 2 shown]
	v_mul_f16_e64 v5, v10, v226
	v_mul_f16_e32 v7, v90, v21
	v_lshrrev_b32_e32 v238, 16, v74
	v_lshrrev_b32_e32 v211, 16, v72
	s_delay_alu instid0(VALU_DEP_4) | instskip(NEXT) | instid1(VALU_DEP_4)
	v_fmac_f16_e32 v5, v3, v83
	v_fmac_f16_e32 v7, v6, v84
	v_mul_f16_e64 v3, v3, v226
	v_mul_f16_e32 v6, v6, v21
	s_delay_alu instid0(VALU_DEP_4) | instskip(NEXT) | instid1(VALU_DEP_4)
	v_add_f16_e32 v13, v12, v5
	v_add_f16_e32 v16, v5, v7
	s_delay_alu instid0(VALU_DEP_4) | instskip(NEXT) | instid1(VALU_DEP_4)
	v_fma_f16 v3, v10, v83, -v3
	v_fma_f16 v6, v90, v84, -v6
	v_sub_f16_e32 v5, v5, v7
	v_add_f16_e32 v7, v13, v7
	v_fmac_f16_e32 v12, -0.5, v16
	v_add_f16_e32 v10, v8, v3
	v_add_f16_e32 v13, v3, v6
	v_sub_f16_e32 v3, v3, v6
	s_delay_alu instid0(VALU_DEP_3) | instskip(NEXT) | instid1(VALU_DEP_3)
	v_add_f16_e32 v10, v10, v6
	v_fma_f16 v6, -0.5, v13, v8
	s_delay_alu instid0(VALU_DEP_3)
	v_fmamk_f16 v8, v3, 0xbaee, v12
	v_fmac_f16_e32 v12, 0x3aee, v3
	v_mul_f16_e64 v3, v11, v215
	v_pack_b32_f16 v4, v10, v7
	v_fmamk_f16 v7, v5, 0x3aee, v6
	v_fmac_f16_e32 v6, 0xbaee, v5
	v_lshrrev_b32_e32 v10, 16, v100
	v_lshrrev_b32_e32 v13, 16, v104
	s_delay_alu instid0(VALU_DEP_4)
	v_pack_b32_f16 v7, v7, v8
	ds_store_b32 v174, v4 offset:1080
	ds_store_2addr_b32 v153, v2, v7 offset0:73 offset1:208
	v_pack_b32_f16 v2, v6, v12
	v_lshrrev_b32_e32 v4, 16, v91
	v_mul_f16_e64 v6, v91, v218
	v_mul_f16_e64 v12, v100, v214
	;; [unrolled: 1-line block ×3, first 2 shown]
	ds_store_2addr_b32 v183, v1, v2 offset0:11 offset1:146
	s_wait_alu 0xfffd
	v_cndmask_b32_e64 v1, 0, 0x546, vcc_lo
	v_mul_f16_e64 v5, v4, v218
	v_fmac_f16_e32 v6, v4, v82
	v_lshrrev_b32_e32 v4, 16, v9
	v_fmac_f16_e32 v12, v10, v67
	v_add_lshl_u32 v212, v85, v1, 2
	v_lshrrev_b32_e32 v1, 16, v11
	v_fma_f16 v5, v91, v82, -v5
	v_mul_f16_e64 v85, v103, v192
	v_fma_f16 v16, v104, v68, -v16
	v_fmac_f16_e32 v87, v13, v68
	v_mul_f16_e64 v2, v1, v215
	v_fmac_f16_e32 v3, v1, v81
	v_lshrrev_b32_e32 v91, 16, v160
	s_delay_alu instid0(VALU_DEP_3) | instskip(SKIP_1) | instid1(VALU_DEP_2)
	v_fma_f16 v2, v11, v81, -v2
	v_mul_f16_e64 v11, v10, v214
	v_add_f16_e32 v1, v2, v5
	v_add_f16_e32 v7, v9, v2
	s_delay_alu instid0(VALU_DEP_3) | instskip(NEXT) | instid1(VALU_DEP_3)
	v_fma_f16 v11, v100, v67, -v11
	v_fmac_f16_e32 v9, -0.5, v1
	v_sub_f16_e32 v1, v3, v6
	s_delay_alu instid0(VALU_DEP_1) | instskip(SKIP_3) | instid1(VALU_DEP_2)
	v_fmamk_f16 v8, v1, 0x3aee, v9
	v_fmac_f16_e32 v9, 0xbaee, v1
	v_add_f16_e32 v1, v3, v6
	v_add_f16_e32 v3, v4, v3
	v_fmac_f16_e32 v4, -0.5, v1
	v_sub_f16_e32 v1, v2, v5
	v_add_f16_e32 v5, v7, v5
	s_delay_alu instid0(VALU_DEP_4) | instskip(SKIP_1) | instid1(VALU_DEP_4)
	v_add_f16_e32 v3, v3, v6
	v_lshrrev_b32_e32 v6, 16, v103
	v_fmamk_f16 v2, v1, 0xbaee, v4
	v_fmac_f16_e32 v4, 0x3aee, v1
	s_delay_alu instid0(VALU_DEP_4) | instskip(NEXT) | instid1(VALU_DEP_4)
	v_pack_b32_f16 v3, v5, v3
	v_mul_f16_e64 v7, v6, v192
	v_fmac_f16_e32 v85, v6, v70
	v_pack_b32_f16 v2, v8, v2
	v_pack_b32_f16 v1, v9, v4
	v_lshrrev_b32_e32 v4, 16, v99
	v_mul_f16_e64 v9, v99, v202
	ds_store_b32 v212, v3
	ds_store_b32 v212, v2 offset:1800
	ds_store_b32 v212, v1 offset:3600
	v_lshrrev_b32_e32 v2, 16, v97
	v_fma_f16 v7, v103, v70, -v7
	v_lshrrev_b32_e32 v5, 16, v98
	v_fmac_f16_e32 v9, v4, v69
	v_mul_f16_e64 v4, v4, v202
	s_delay_alu instid0(VALU_DEP_3) | instskip(NEXT) | instid1(VALU_DEP_3)
	v_add_f16_e32 v6, v5, v12
	v_add_f16_e32 v3, v2, v9
	s_delay_alu instid0(VALU_DEP_3) | instskip(SKIP_1) | instid1(VALU_DEP_4)
	v_fma_f16 v4, v99, v69, -v4
	v_mul_f16_e64 v99, v160, v211
	v_add_f16_e32 v6, v6, v87
	s_delay_alu instid0(VALU_DEP_4) | instskip(NEXT) | instid1(VALU_DEP_4)
	v_add_f16_e32 v3, v3, v85
	v_add_f16_e32 v1, v97, v4
	s_delay_alu instid0(VALU_DEP_4) | instskip(NEXT) | instid1(VALU_DEP_2)
	v_fmac_f16_e32 v99, v91, v72
	v_add_f16_e32 v1, v1, v7
	s_delay_alu instid0(VALU_DEP_1) | instskip(SKIP_1) | instid1(VALU_DEP_1)
	v_pack_b32_f16 v1, v1, v3
	v_add_f16_e32 v3, v98, v11
	v_add_f16_e32 v3, v3, v16
	s_delay_alu instid0(VALU_DEP_1)
	v_pack_b32_f16 v3, v3, v6
	v_add_f16_e32 v6, v11, v16
	ds_store_2addr_b32 v189, v1, v3 offset0:32 offset1:167
	v_add_f16_e32 v1, v9, v85
	v_sub_f16_e32 v3, v9, v85
	v_fmac_f16_e32 v98, -0.5, v6
	v_add_f16_e32 v6, v12, v87
	v_mul_f16_e64 v85, v158, v190
	v_fmac_f16_e32 v2, -0.5, v1
	v_add_f16_e32 v1, v4, v7
	v_sub_f16_e32 v4, v4, v7
	v_sub_f16_e32 v7, v12, v87
	v_fmac_f16_e32 v5, -0.5, v6
	v_sub_f16_e32 v6, v11, v16
	v_fma_f16 v1, -0.5, v1, v97
	v_fmamk_f16 v9, v4, 0xbaee, v2
	v_fmac_f16_e32 v2, 0x3aee, v4
	v_lshrrev_b32_e32 v12, 16, v158
	v_fmamk_f16 v10, v6, 0xbaee, v5
	v_fmamk_f16 v8, v3, 0x3aee, v1
	v_fmac_f16_e32 v1, 0xbaee, v3
	v_lshrrev_b32_e32 v3, 16, v135
	v_fmac_f16_e32 v5, 0x3aee, v6
	v_mul_f16_e64 v6, v135, v188
	v_pack_b32_f16 v8, v8, v9
	v_fmamk_f16 v9, v7, 0x3aee, v98
	v_fmac_f16_e32 v98, 0xbaee, v7
	v_lshrrev_b32_e32 v7, 16, v138
	v_mul_f16_e64 v4, v3, v188
	v_pack_b32_f16 v1, v1, v2
	v_pack_b32_f16 v9, v9, v10
	;; [unrolled: 1-line block ×3, first 2 shown]
	v_add_nc_u32_e32 v2, 0x2400, v174
	v_fma_f16 v4, v135, v75, -v4
	v_fmac_f16_e32 v6, v3, v75
	ds_store_2addr_b32 v182, v8, v9 offset0:98 offset1:233
	v_mul_f16_e64 v8, v7, v228
	v_mul_f16_e64 v9, v138, v228
	ds_store_2addr_b32 v2, v1, v5 offset0:36 offset1:171
	v_lshrrev_b32_e32 v1, 16, v134
	v_mul_f16_e64 v5, v134, v229
	v_fma_f16 v8, v138, v76, -v8
	v_lshrrev_b32_e32 v10, 16, v157
	v_mul_f16_e64 v16, v157, v186
	v_fmac_f16_e32 v9, v7, v76
	v_mul_f16_e64 v2, v1, v229
	v_add_f16_e32 v7, v4, v8
	v_fmac_f16_e32 v5, v1, v77
	v_lshrrev_b32_e32 v1, 16, v137
	v_mul_f16_e64 v3, v137, v184
	v_mul_f16_e64 v11, v10, v186
	;; [unrolled: 1-line block ×3, first 2 shown]
	v_lshrrev_b32_e32 v87, 16, v159
	v_mul_f16_e64 v98, v159, v238
	v_fmac_f16_e32 v16, v10, v73
	v_fmac_f16_e32 v85, v12, v71
	v_lshrrev_b32_e32 v10, 16, v133
	v_add_f16_e64 v12, v133, v4
	v_fmac_f16_e64 v133, -0.5, v7
	v_sub_f16_e32 v7, v6, v9
	v_fmac_f16_e32 v3, v1, v78
	v_mul_f16_e64 v1, v1, v184
	v_mul_f16_e64 v90, v87, v238
	v_fmac_f16_e32 v98, v87, v74
	v_fma_f16 v87, 0x3aee, v7, v133
	v_fmac_f16_e64 v133, 0xbaee, v7
	v_add_f16_e32 v7, v6, v9
	v_fma_f16 v2, v134, v77, -v2
	v_fma_f16 v1, v137, v78, -v1
	v_add_f16_e32 v6, v10, v6
	v_sub_f16_e32 v4, v4, v8
	v_fmac_f16_e32 v10, -0.5, v7
	v_mul_f16_e64 v97, v91, v211
	v_lshrrev_b32_e32 v91, 16, v132
	v_add_f16_e64 v100, v132, v2
	v_add_f16_e32 v103, v5, v3
	v_fmamk_f16 v7, v4, 0xbaee, v10
	v_fmac_f16_e32 v10, 0x3aee, v4
	v_add_f16_e32 v4, v2, v1
	v_fma_f16 v13, v158, v71, -v13
	v_fma_f16 v97, v160, v72, -v97
	v_add_f16_e32 v104, v91, v5
	v_fmac_f16_e32 v91, -0.5, v103
	v_fma_f16 v4, -0.5, v4, v132
	v_add_f16_e32 v100, v100, v1
	v_sub_f16_e32 v1, v2, v1
	v_sub_f16_e32 v2, v5, v3
	v_add_f16_e32 v6, v6, v9
	v_lshrrev_b32_e32 v9, 16, v156
	v_fma_f16 v11, v157, v73, -v11
	v_fma_f16 v90, v159, v74, -v90
	v_fmamk_f16 v5, v2, 0x3aee, v4
	v_fmac_f16_e32 v4, 0xbaee, v2
	v_add_f16_e32 v2, v104, v3
	v_fmamk_f16 v3, v1, 0xbaee, v91
	v_fmac_f16_e32 v91, 0x3aee, v1
	v_add_f16_e32 v1, v12, v8
	v_add_f16_e32 v8, v13, v97
	v_add_f16_e64 v12, v156, v13
	v_lshrrev_b32_e32 v104, 16, v155
	v_add_f16_e32 v106, v16, v98
	v_add_f16_e64 v105, v155, v11
	v_fmac_f16_e64 v156, -0.5, v8
	v_sub_f16_e32 v8, v85, v99
	v_add_f16_e32 v115, v104, v16
	v_fmac_f16_e32 v104, -0.5, v106
	v_sub_f16_e32 v16, v16, v98
	v_add_f16_e32 v105, v105, v90
	v_fma_f16 v103, 0x3aee, v8, v156
	v_fmac_f16_e64 v156, 0xbaee, v8
	v_add_f16_e32 v8, v85, v99
	v_add_f16_e32 v85, v9, v85
	v_pack_b32_f16 v3, v5, v3
	v_pack_b32_f16 v2, v100, v2
	;; [unrolled: 1-line block ×3, first 2 shown]
	v_fmac_f16_e32 v9, -0.5, v8
	v_sub_f16_e32 v8, v13, v97
	v_pack_b32_f16 v1, v1, v6
	v_pack_b32_f16 v10, v133, v10
	s_delay_alu instid0(VALU_DEP_3) | instskip(SKIP_3) | instid1(VALU_DEP_3)
	v_fmamk_f16 v13, v8, 0xbaee, v9
	v_fmac_f16_e32 v9, 0x3aee, v8
	v_add_f16_e32 v8, v11, v90
	v_sub_f16_e32 v11, v11, v90
	v_pack_b32_f16 v9, v156, v9
	s_delay_alu instid0(VALU_DEP_3) | instskip(NEXT) | instid1(VALU_DEP_1)
	v_fma_f16 v8, -0.5, v8, v155
	v_fmamk_f16 v90, v16, 0x3aee, v8
	v_fmac_f16_e32 v8, 0xbaee, v16
	v_add_f16_e32 v16, v115, v98
	v_fmamk_f16 v98, v11, 0xbaee, v104
	v_fmac_f16_e32 v104, 0x3aee, v11
	v_add_f16_e32 v11, v12, v97
	v_mad_u16 v12, 0x546, v19, v20
	v_add_f16_e32 v19, v85, v99
	s_delay_alu instid0(VALU_DEP_2) | instskip(NEXT) | instid1(VALU_DEP_1)
	v_and_b32_e32 v5, 0xffff, v12
	v_lshlrev_b32_e32 v241, 2, v5
	ds_store_b32 v241, v2
	ds_store_b32 v241, v3 offset:1800
	ds_store_b32 v241, v4 offset:3600
	v_and_b32_e32 v3, 0xffff, v25
	v_and_b32_e32 v4, 0xffff, v101
	v_pack_b32_f16 v2, v87, v7
	s_delay_alu instid0(VALU_DEP_3)
	v_lshlrev_b32_e32 v231, 2, v3
	ds_store_b32 v231, v1 offset:10800
	ds_store_b32 v231, v2 offset:12600
	ds_store_b32 v231, v10 offset:14400
	v_pack_b32_f16 v1, v105, v16
	v_lshlrev_b32_e32 v223, 2, v4
	v_pack_b32_f16 v2, v90, v98
	v_pack_b32_f16 v3, v8, v104
	ds_store_b32 v223, v1 offset:10800
	ds_store_b32 v223, v2 offset:12600
	;; [unrolled: 1-line block ×3, first 2 shown]
	v_and_b32_e32 v3, 0xffff, v102
	v_pack_b32_f16 v1, v11, v19
	v_pack_b32_f16 v2, v103, v13
	s_delay_alu instid0(VALU_DEP_3)
	v_lshlrev_b32_e32 v224, 2, v3
	ds_store_b32 v224, v1 offset:10800
	ds_store_b32 v224, v2 offset:12600
	;; [unrolled: 1-line block ×3, first 2 shown]
	v_lshlrev_b32_e32 v1, 3, v88
	global_wb scope:SCOPE_SE
	s_wait_dscnt 0x0
	s_barrier_signal -1
	s_barrier_wait -1
	global_inv scope:SCOPE_SE
	s_clause 0x3
	global_load_b64 v[203:204], v89, s[6:7] offset:5360
	global_load_b64 v[89:90], v0, s[6:7] offset:5360
	;; [unrolled: 1-line block ×4, first 2 shown]
	ds_load_2addr_b32 v[2:3], v209 offset0:70 offset1:205
	s_wait_dscnt 0x0
	v_lshrrev_b32_e32 v0, 16, v2
	v_lshrrev_b32_e32 v4, 16, v3
	s_wait_loadcnt 0x3
	v_lshrrev_b32_e32 v227, 16, v203
	s_wait_loadcnt 0x2
	v_lshrrev_b32_e32 v175, 16, v89
	v_lshrrev_b32_e32 v171, 16, v204
	v_lshrrev_b32_e32 v172, 16, v90
	s_wait_loadcnt 0x1
	v_lshrrev_b32_e32 v160, 16, v87
	v_mul_f16_e64 v1, v2, v227
	v_mul_f16_e64 v19, v3, v175
	v_lshrrev_b32_e32 v169, 16, v88
	s_wait_loadcnt 0x0
	v_lshrrev_b32_e32 v158, 16, v85
	v_lshrrev_b32_e32 v159, 16, v86
	v_fmac_f16_e64 v1, v0, v203
	v_mul_f16_e64 v0, v0, v227
	v_fmac_f16_e32 v19, v4, v89
	s_delay_alu instid0(VALU_DEP_2) | instskip(SKIP_1) | instid1(VALU_DEP_1)
	v_fma_f16 v0, v2, v203, -v0
	v_mul_f16_e64 v2, v4, v175
	v_fma_f16 v16, v3, v89, -v2
	ds_load_2addr_b32 v[2:3], v180 offset0:12 offset1:147
	s_wait_dscnt 0x0
	v_lshrrev_b32_e32 v5, 16, v2
	v_mul_f16_e64 v6, v2, v171
	v_lshrrev_b32_e32 v7, 16, v3
	v_mul_f16_e64 v25, v3, v172
	s_delay_alu instid0(VALU_DEP_3) | instskip(SKIP_1) | instid1(VALU_DEP_3)
	v_fmac_f16_e64 v6, v5, v204
	v_mul_f16_e64 v5, v5, v171
	v_fmac_f16_e32 v25, v7, v90
	s_delay_alu instid0(VALU_DEP_3) | instskip(NEXT) | instid1(VALU_DEP_3)
	v_add_f16_e32 v9, v1, v6
	v_fma_f16 v5, v2, v204, -v5
	v_mul_f16_e64 v2, v7, v172
	s_delay_alu instid0(VALU_DEP_2) | instskip(NEXT) | instid1(VALU_DEP_2)
	v_add_f16_e32 v11, v0, v5
	v_fma_f16 v20, v3, v90, -v2
	ds_load_2addr_b32 v[2:3], v174 offset1:135
	s_wait_dscnt 0x0
	v_lshrrev_b32_e32 v8, 16, v2
	v_lshrrev_b32_e32 v100, 16, v3
	s_delay_alu instid0(VALU_DEP_2)
	v_add_f16_e32 v10, v8, v1
	v_fmac_f16_e32 v8, -0.5, v9
	v_add_f16_e32 v9, v2, v0
	v_fma_f16 v2, -0.5, v11, v2
	v_sub_f16_e32 v1, v1, v6
	v_sub_f16_e32 v0, v0, v5
	s_delay_alu instid0(VALU_DEP_4) | instskip(NEXT) | instid1(VALU_DEP_3)
	v_add_f16_e32 v9, v9, v5
	v_fmamk_f16 v5, v1, 0x3aee, v2
	v_fmac_f16_e32 v2, 0xbaee, v1
	v_add_f16_e32 v1, v10, v6
	v_fmamk_f16 v6, v0, 0xbaee, v8
	v_fmac_f16_e32 v8, 0x3aee, v0
	v_add_f16_e32 v0, v3, v16
	s_delay_alu instid0(VALU_DEP_4) | instskip(SKIP_2) | instid1(VALU_DEP_4)
	v_pack_b32_f16 v91, v9, v1
	v_add_f16_e32 v1, v100, v19
	v_pack_b32_f16 v99, v5, v6
	v_add_f16_e32 v0, v0, v20
	v_pack_b32_f16 v2, v2, v8
	s_delay_alu instid0(VALU_DEP_4) | instskip(NEXT) | instid1(VALU_DEP_1)
	v_add_f16_e32 v1, v1, v25
	v_pack_b32_f16 v115, v0, v1
	ds_load_2addr_b32 v[8:9], v185 offset0:14 offset1:149
	ds_load_2addr_b32 v[10:11], v178 offset0:84 offset1:219
	;; [unrolled: 1-line block ×12, first 2 shown]
	ds_store_b32 v174, v99 offset:5400
	ds_store_b32 v174, v2 offset:10800
	ds_store_2addr_b32 v174, v91, v115 offset1:135
	v_add_f16_e32 v2, v16, v20
	s_delay_alu instid0(VALU_DEP_1)
	v_fmac_f16_e32 v3, -0.5, v2
	v_add_f16_e32 v2, v19, v25
	v_sub_f16_e32 v19, v19, v25
	s_wait_dscnt 0xc
	v_lshrrev_b32_e32 v25, 16, v97
	v_mul_f16_e64 v91, v97, v169
	v_lshrrev_b32_e32 v99, 16, v8
	v_fmac_f16_e32 v100, -0.5, v2
	v_sub_f16_e32 v2, v16, v20
	v_fmamk_f16 v16, v19, 0x3aee, v3
	v_fmac_f16_e32 v3, 0xbaee, v19
	v_mul_f16_e64 v20, v10, v160
	v_fmac_f16_e32 v91, v25, v88
	v_fmamk_f16 v19, v2, 0xbaee, v100
	v_fmac_f16_e32 v100, 0x3aee, v2
	s_delay_alu instid0(VALU_DEP_2) | instskip(NEXT) | instid1(VALU_DEP_2)
	v_pack_b32_f16 v16, v16, v19
	v_pack_b32_f16 v2, v3, v100
	v_lshrrev_b32_e32 v3, 16, v10
	v_mul_f16_e64 v19, v25, v169
	s_delay_alu instid0(VALU_DEP_2) | instskip(SKIP_1) | instid1(VALU_DEP_2)
	v_fmac_f16_e32 v20, v3, v87
	v_mul_f16_e64 v3, v3, v160
	v_add_f16_e32 v100, v20, v91
	s_delay_alu instid0(VALU_DEP_2) | instskip(SKIP_4) | instid1(VALU_DEP_4)
	v_fma_f16 v3, v10, v87, -v3
	v_fma_f16 v10, v97, v88, -v19
	v_add_f16_e32 v115, v99, v20
	v_sub_f16_e32 v20, v20, v91
	v_fmac_f16_e32 v99, -0.5, v100
	v_add_f16_e32 v19, v3, v10
	v_sub_f16_e32 v25, v3, v10
	v_add_f16_e32 v3, v8, v3
	s_delay_alu instid0(VALU_DEP_3) | instskip(NEXT) | instid1(VALU_DEP_3)
	v_fma_f16 v19, -0.5, v19, v8
	v_fmamk_f16 v100, v25, 0xbaee, v99
	v_fmac_f16_e32 v99, 0x3aee, v25
	s_delay_alu instid0(VALU_DEP_4) | instskip(SKIP_4) | instid1(VALU_DEP_3)
	v_add_f16_e32 v3, v3, v10
	v_add_f16_e32 v8, v115, v91
	v_fmamk_f16 v97, v20, 0x3aee, v19
	v_fmac_f16_e32 v19, 0xbaee, v20
	v_mul_f16_e64 v25, v98, v159
	v_pack_b32_f16 v97, v97, v100
	ds_store_2addr_b32 v189, v16, v97 offset0:77 offset1:212
	v_pack_b32_f16 v16, v19, v99
	v_add_nc_u32_e32 v19, 0x2c00, v174
	ds_store_2addr_b32 v19, v2, v16 offset0:19 offset1:154
	v_lshrrev_b32_e32 v2, 16, v11
	v_mov_b32_e32 v21, v19
	v_lshrrev_b32_e32 v19, 16, v98
	s_delay_alu instid0(VALU_DEP_3) | instskip(NEXT) | instid1(VALU_DEP_2)
	v_mul_f16_e64 v16, v2, v158
	v_mul_f16_e64 v20, v19, v159
	v_fmac_f16_e32 v25, v19, v86
	s_delay_alu instid0(VALU_DEP_3) | instskip(SKIP_1) | instid1(VALU_DEP_4)
	v_fma_f16 v16, v11, v85, -v16
	v_mul_f16_e64 v11, v11, v158
	v_fma_f16 v20, v98, v86, -v20
	s_delay_alu instid0(VALU_DEP_2) | instskip(SKIP_3) | instid1(VALU_DEP_2)
	v_fmac_f16_e32 v11, v2, v85
	v_pack_b32_f16 v2, v3, v8
	v_lshrrev_b32_e32 v8, 16, v9
	v_add_f16_e32 v3, v9, v16
	v_add_f16_e32 v10, v8, v11
	s_delay_alu instid0(VALU_DEP_2) | instskip(NEXT) | instid1(VALU_DEP_2)
	v_add_f16_e32 v3, v3, v20
	v_add_f16_e32 v10, v10, v25
	s_delay_alu instid0(VALU_DEP_1) | instskip(SKIP_3) | instid1(VALU_DEP_2)
	v_pack_b32_f16 v3, v3, v10
	ds_store_2addr_b32 v185, v2, v3 offset0:14 offset1:149
	v_add_f16_e32 v2, v16, v20
	v_sub_f16_e32 v3, v11, v25
	v_fmac_f16_e32 v9, -0.5, v2
	v_add_f16_e32 v2, v11, v25
	v_lshlrev_b32_e32 v11, 3, v96
	s_delay_alu instid0(VALU_DEP_3) | instskip(NEXT) | instid1(VALU_DEP_3)
	v_fmamk_f16 v10, v3, 0x3aee, v9
	v_fmac_f16_e32 v8, -0.5, v2
	v_sub_f16_e32 v2, v16, v20
	v_fmac_f16_e32 v9, 0xbaee, v3
	s_wait_dscnt 0xe
	v_lshrrev_b32_e32 v16, 16, v103
	s_delay_alu instid0(VALU_DEP_3) | instskip(SKIP_1) | instid1(VALU_DEP_2)
	v_fmamk_f16 v3, v2, 0xbaee, v8
	v_fmac_f16_e32 v8, 0x3aee, v2
	v_pack_b32_f16 v3, v10, v3
	s_delay_alu instid0(VALU_DEP_2)
	v_pack_b32_f16 v2, v9, v8
	v_lshlrev_b32_e32 v8, 3, v17
	v_lshlrev_b32_e32 v9, 3, v15
	;; [unrolled: 1-line block ×3, first 2 shown]
	s_clause 0x3
	global_load_b64 v[99:100], v8, s[6:7] offset:5360
	global_load_b64 v[97:98], v9, s[6:7] offset:5360
	;; [unrolled: 1-line block ×4, first 2 shown]
	s_wait_dscnt 0xd
	v_lshrrev_b32_e32 v8, 16, v132
	s_wait_dscnt 0xc
	v_lshrrev_b32_e32 v11, 16, v134
	s_wait_loadcnt 0x3
	v_lshrrev_b32_e32 v155, 16, v99
	v_lshrrev_b32_e32 v156, 16, v100
	s_wait_loadcnt 0x2
	v_lshrrev_b32_e32 v168, 16, v97
	;; [unrolled: 3-line block ×3, first 2 shown]
	v_mul_f16_e64 v9, v132, v155
	v_mul_f16_e64 v15, v134, v156
	;; [unrolled: 1-line block ×3, first 2 shown]
	v_lshrrev_b32_e32 v96, 16, v152
	s_wait_loadcnt 0x0
	v_lshrrev_b32_e32 v137, 16, v150
	v_fmac_f16_e32 v9, v8, v99
	v_mul_f16_e64 v8, v8, v155
	v_fmac_f16_e32 v15, v11, v100
	v_fma_f16 v10, v134, v100, -v10
	s_delay_alu instid0(VALU_DEP_4) | instskip(NEXT) | instid1(VALU_DEP_4)
	v_add_f16_e32 v18, v16, v9
	v_fma_f16 v8, v132, v99, -v8
	s_delay_alu instid0(VALU_DEP_4) | instskip(SKIP_1) | instid1(VALU_DEP_3)
	v_add_f16_e32 v17, v9, v15
	v_sub_f16_e32 v9, v9, v15
	v_add_f16_e32 v11, v8, v10
	s_delay_alu instid0(VALU_DEP_3) | instskip(SKIP_2) | instid1(VALU_DEP_4)
	v_fmac_f16_e32 v16, -0.5, v17
	v_sub_f16_e32 v17, v8, v10
	v_add_f16_e32 v8, v103, v8
	v_fma_f16 v11, -0.5, v11, v103
	s_delay_alu instid0(VALU_DEP_3) | instskip(SKIP_1) | instid1(VALU_DEP_4)
	v_fmamk_f16 v20, v17, 0xbaee, v16
	v_fmac_f16_e32 v16, 0x3aee, v17
	v_add_f16_e32 v8, v8, v10
	s_delay_alu instid0(VALU_DEP_4)
	v_fmamk_f16 v19, v9, 0x3aee, v11
	v_fmac_f16_e32 v11, 0xbaee, v9
	v_add_nc_u32_e32 v9, 0x3000, v174
	v_add_f16_e32 v10, v18, v15
	v_mul_f16_e64 v17, v135, v157
	v_pack_b32_f16 v19, v19, v20
	s_wait_dscnt 0x9
	v_mul_f16_e32 v15, v4, v96
	v_mov_b32_e32 v22, v9
	ds_store_2addr_b32 v166, v3, v19 offset0:91 offset1:226
	v_pack_b32_f16 v3, v11, v16
	v_lshrrev_b32_e32 v11, 16, v135
	v_lshrrev_b32_e32 v19, 16, v5
	ds_store_2addr_b32 v9, v2, v3 offset0:33 offset1:168
	v_lshrrev_b32_e32 v2, 16, v133
	v_mul_f16_e64 v9, v133, v168
	v_mul_f16_e64 v16, v11, v157
	v_fmac_f16_e32 v17, v11, v98
	v_mul_f16_e64 v20, v19, v137
	v_mul_f16_e64 v3, v2, v168
	v_fmac_f16_e32 v9, v2, v97
	v_pack_b32_f16 v2, v8, v10
	v_lshrrev_b32_e32 v10, 16, v104
	v_fma_f16 v16, v135, v98, -v16
	v_fma_f16 v3, v133, v97, -v3
	v_lshrrev_b32_e32 v135, 16, v149
	v_fma_f16 v20, v5, v150, -v20
	v_add_f16_e32 v11, v10, v9
	v_mul_f16_e64 v5, v5, v137
	v_add_f16_e32 v8, v104, v3
	s_delay_alu instid0(VALU_DEP_3) | instskip(NEXT) | instid1(VALU_DEP_3)
	v_add_f16_e32 v11, v11, v17
	v_fmac_f16_e64 v5, v19, v150
	s_delay_alu instid0(VALU_DEP_3) | instskip(NEXT) | instid1(VALU_DEP_1)
	v_add_f16_e32 v8, v8, v16
	v_pack_b32_f16 v8, v8, v11
	v_lshrrev_b32_e32 v11, 16, v4
	ds_store_2addr_b32 v153, v2, v8 offset0:28 offset1:163
	v_add_f16_e32 v2, v3, v16
	v_sub_f16_e32 v8, v9, v17
	v_fmac_f16_e64 v15, v11, v152
	s_delay_alu instid0(VALU_DEP_3) | instskip(SKIP_2) | instid1(VALU_DEP_2)
	v_fmac_f16_e32 v104, -0.5, v2
	v_add_f16_e32 v2, v9, v17
	v_lshrrev_b32_e32 v9, 16, v101
	v_fmac_f16_e32 v10, -0.5, v2
	v_sub_f16_e32 v2, v3, v16
	v_fmamk_f16 v3, v8, 0x3aee, v104
	v_fmac_f16_e32 v104, 0xbaee, v8
	v_lshrrev_b32_e32 v16, 16, v105
	s_delay_alu instid0(VALU_DEP_4) | instskip(SKIP_1) | instid1(VALU_DEP_2)
	v_fmamk_f16 v8, v2, 0xbaee, v10
	v_fmac_f16_e32 v10, 0x3aee, v2
	v_pack_b32_f16 v3, v3, v8
	s_delay_alu instid0(VALU_DEP_2)
	v_pack_b32_f16 v2, v104, v10
	v_mul_f16_e64 v10, v101, v138
	v_mul_f16_e32 v8, v11, v96
	ds_store_b32 v174, v2 offset:13500
	v_mul_f16_e64 v2, v9, v138
	v_fmac_f16_e64 v10, v9, v151
	v_fma_f16 v4, v4, v152, -v8
	s_delay_alu instid0(VALU_DEP_3) | instskip(NEXT) | instid1(VALU_DEP_3)
	v_fma_f16 v2, v101, v151, -v2
	v_add_f16_e32 v17, v10, v15
	v_add_f16_e32 v18, v16, v10
	v_sub_f16_e32 v9, v10, v15
	s_delay_alu instid0(VALU_DEP_4) | instskip(NEXT) | instid1(VALU_DEP_4)
	v_add_f16_e32 v8, v2, v4
	v_fmac_f16_e32 v16, -0.5, v17
	v_sub_f16_e32 v10, v2, v4
	v_add_f16_e32 v2, v105, v2
	s_delay_alu instid0(VALU_DEP_4) | instskip(NEXT) | instid1(VALU_DEP_3)
	v_fma_f16 v8, -0.5, v8, v105
	v_fmamk_f16 v17, v10, 0xbaee, v16
	s_delay_alu instid0(VALU_DEP_3) | instskip(SKIP_1) | instid1(VALU_DEP_4)
	v_add_f16_e32 v2, v2, v4
	v_add_f16_e32 v4, v18, v15
	v_fmamk_f16 v11, v9, 0x3aee, v8
	v_fmac_f16_e32 v8, 0xbaee, v9
	v_fmac_f16_e32 v16, 0x3aee, v10
	s_wait_dscnt 0xc
	v_lshrrev_b32_e32 v10, 16, v0
	v_pack_b32_f16 v2, v2, v4
	v_pack_b32_f16 v11, v11, v17
	v_add_nc_u32_e32 v17, 0x1e00, v174
	v_lshrrev_b32_e32 v4, 16, v106
	ds_store_2addr_b32 v17, v3, v11 offset0:105 offset1:240
	v_lshrrev_b32_e32 v3, 16, v102
	v_mov_b32_e32 v23, v17
	v_mul_f16_e64 v17, v102, v135
	s_delay_alu instid0(VALU_DEP_3) | instskip(NEXT) | instid1(VALU_DEP_2)
	v_mul_f16_e64 v11, v3, v135
	v_fmac_f16_e64 v17, v3, v149
	s_delay_alu instid0(VALU_DEP_2) | instskip(NEXT) | instid1(VALU_DEP_2)
	v_fma_f16 v11, v102, v149, -v11
	v_add_f16_e32 v15, v4, v17
	s_delay_alu instid0(VALU_DEP_2) | instskip(NEXT) | instid1(VALU_DEP_2)
	v_add_f16_e32 v3, v106, v11
	v_add_f16_e32 v15, v15, v5
	s_delay_alu instid0(VALU_DEP_2) | instskip(NEXT) | instid1(VALU_DEP_1)
	v_add_f16_e32 v3, v3, v20
	v_pack_b32_f16 v3, v3, v15
	ds_store_2addr_b32 v181, v2, v3 offset0:42 offset1:177
	v_add_f16_e32 v2, v11, v20
	v_sub_f16_e32 v3, v17, v5
	s_delay_alu instid0(VALU_DEP_2) | instskip(SKIP_1) | instid1(VALU_DEP_2)
	v_fmac_f16_e32 v106, -0.5, v2
	v_add_f16_e32 v2, v17, v5
	v_fmamk_f16 v5, v3, 0x3aee, v106
	s_delay_alu instid0(VALU_DEP_2) | instskip(SKIP_2) | instid1(VALU_DEP_2)
	v_fmac_f16_e32 v4, -0.5, v2
	v_sub_f16_e32 v2, v11, v20
	v_fmac_f16_e32 v106, 0xbaee, v3
	v_fmamk_f16 v3, v2, 0xbaee, v4
	v_fmac_f16_e32 v4, 0x3aee, v2
	s_delay_alu instid0(VALU_DEP_2) | instskip(NEXT) | instid1(VALU_DEP_2)
	v_pack_b32_f16 v3, v5, v3
	v_pack_b32_f16 v2, v106, v4
	;; [unrolled: 1-line block ×3, first 2 shown]
	s_wait_dscnt 0xc
	v_lshrrev_b32_e32 v8, 16, v12
	ds_store_2addr_b32 v173, v4, v2 offset0:54 offset1:189
	v_lshlrev_b32_e32 v2, 3, v24
	v_lshlrev_b32_e32 v4, 3, v14
	s_clause 0x1
	global_load_b64 v[103:104], v2, s[6:7] offset:5360
	global_load_b64 v[101:102], v4, s[6:7] offset:5360
	v_lshrrev_b32_e32 v2, 16, v6
	s_wait_loadcnt 0x1
	v_lshrrev_b32_e32 v133, 16, v103
	v_lshrrev_b32_e32 v134, 16, v104
	s_wait_loadcnt 0x0
	v_lshrrev_b32_e32 v91, 16, v101
	v_lshrrev_b32_e32 v132, 16, v102
	v_mul_f16_e64 v4, v6, v133
	v_mul_f16_e64 v9, v12, v134
	v_mul_f16_e64 v5, v8, v134
	s_delay_alu instid0(VALU_DEP_3) | instskip(SKIP_1) | instid1(VALU_DEP_4)
	v_fmac_f16_e32 v4, v2, v103
	v_mul_f16_e64 v2, v2, v133
	v_fmac_f16_e32 v9, v8, v104
	s_delay_alu instid0(VALU_DEP_4) | instskip(NEXT) | instid1(VALU_DEP_4)
	v_fma_f16 v5, v12, v104, -v5
	v_add_f16_e32 v14, v10, v4
	s_delay_alu instid0(VALU_DEP_4) | instskip(NEXT) | instid1(VALU_DEP_4)
	v_fma_f16 v2, v6, v103, -v2
	v_add_f16_e32 v11, v4, v9
	v_sub_f16_e32 v4, v4, v9
	s_delay_alu instid0(VALU_DEP_3) | instskip(NEXT) | instid1(VALU_DEP_3)
	v_add_f16_e32 v6, v2, v5
	v_fmac_f16_e32 v10, -0.5, v11
	v_sub_f16_e32 v8, v2, v5
	s_delay_alu instid0(VALU_DEP_3) | instskip(SKIP_1) | instid1(VALU_DEP_3)
	v_fma_f16 v6, -0.5, v6, v0
	v_add_f16_e32 v0, v0, v2
	v_fmamk_f16 v12, v8, 0xbaee, v10
	v_add_f16_e32 v2, v14, v9
	v_fmac_f16_e32 v10, 0x3aee, v8
	v_fmamk_f16 v11, v4, 0x3aee, v6
	v_add_f16_e32 v0, v0, v5
	v_fmac_f16_e32 v6, 0xbaee, v4
	s_delay_alu instid0(VALU_DEP_3) | instskip(SKIP_1) | instid1(VALU_DEP_4)
	v_pack_b32_f16 v11, v11, v12
	v_add_nc_u32_e32 v12, 0x2200, v174
	v_pack_b32_f16 v0, v0, v2
	ds_store_2addr_b32 v12, v3, v11 offset0:119 offset1:254
	v_lshrrev_b32_e32 v3, 16, v7
	v_mov_b32_e32 v26, v12
	v_lshrrev_b32_e32 v12, 16, v13
	s_delay_alu instid0(VALU_DEP_3) | instskip(NEXT) | instid1(VALU_DEP_2)
	v_mul_f16_e32 v11, v3, v91
	v_mul_f16_e64 v15, v12, v132
	s_delay_alu instid0(VALU_DEP_2) | instskip(SKIP_1) | instid1(VALU_DEP_3)
	v_fma_f16 v11, v7, v101, -v11
	v_mul_f16_e32 v7, v7, v91
	v_fma_f16 v15, v13, v102, -v15
	v_mul_f16_e64 v13, v13, v132
	s_delay_alu instid0(VALU_DEP_4) | instskip(NEXT) | instid1(VALU_DEP_4)
	v_add_f16_e32 v2, v1, v11
	v_fmac_f16_e32 v7, v3, v101
	v_lshrrev_b32_e32 v3, 16, v1
	s_delay_alu instid0(VALU_DEP_4) | instskip(NEXT) | instid1(VALU_DEP_4)
	v_fmac_f16_e32 v13, v12, v102
	v_add_f16_e32 v2, v2, v15
	s_delay_alu instid0(VALU_DEP_3) | instskip(NEXT) | instid1(VALU_DEP_1)
	v_add_f16_e32 v5, v3, v7
	v_add_f16_e32 v5, v5, v13
	s_delay_alu instid0(VALU_DEP_1) | instskip(SKIP_3) | instid1(VALU_DEP_2)
	v_pack_b32_f16 v2, v2, v5
	ds_store_2addr_b32 v183, v0, v2 offset0:56 offset1:191
	v_add_f16_e32 v0, v11, v15
	v_sub_f16_e32 v2, v7, v13
	v_fmac_f16_e32 v1, -0.5, v0
	v_add_f16_e32 v0, v7, v13
	s_delay_alu instid0(VALU_DEP_2) | instskip(NEXT) | instid1(VALU_DEP_2)
	v_fmamk_f16 v5, v2, 0x3aee, v1
	v_fmac_f16_e32 v3, -0.5, v0
	v_sub_f16_e32 v0, v11, v15
	v_fmac_f16_e32 v1, 0xbaee, v2
	s_delay_alu instid0(VALU_DEP_2) | instskip(SKIP_1) | instid1(VALU_DEP_1)
	v_fmamk_f16 v2, v0, 0xbaee, v3
	v_fmac_f16_e32 v3, 0x3aee, v0
	v_pack_b32_f16 v0, v1, v3
	v_pack_b32_f16 v1, v6, v10
	ds_store_2addr_b32 v165, v1, v0 offset0:68 offset1:203
	v_pack_b32_f16 v0, v5, v2
	ds_store_b32 v174, v0 offset:10260
	global_wb scope:SCOPE_SE
	s_wait_dscnt 0x0
	s_barrier_signal -1
	s_barrier_wait -1
	global_inv scope:SCOPE_SE
	s_clause 0x1
	global_load_b32 v2, v174, s[4:5] offset:16200
	global_load_b32 v11, v174, s[2:3] offset:15660
	ds_load_2addr_b32 v[0:1], v174 offset1:135
	s_wait_dscnt 0x0
	v_lshrrev_b32_e32 v4, 16, v0
	s_wait_loadcnt 0x1
	v_lshrrev_b32_e32 v3, 16, v2
	s_delay_alu instid0(VALU_DEP_1) | instskip(NEXT) | instid1(VALU_DEP_3)
	v_mul_f16_e32 v5, v0, v3
	v_mul_f16_e32 v3, v4, v3
	s_delay_alu instid0(VALU_DEP_2) | instskip(NEXT) | instid1(VALU_DEP_2)
	v_fmac_f16_e32 v5, v4, v2
	v_fma_f16 v0, v0, v2, -v3
	s_delay_alu instid0(VALU_DEP_1)
	v_pack_b32_f16 v0, v0, v5
	ds_store_b32 v174, v0
	s_clause 0x6
	global_load_b32 v0, v174, s[2:3] offset:1620
	global_load_b32 v5, v174, s[2:3] offset:2160
	global_load_b32 v12, v174, s[2:3] offset:2700
	global_load_b32 v13, v174, s[2:3] offset:3240
	global_load_b32 v14, v174, s[2:3] offset:3780
	global_load_b32 v15, v174, s[2:3] offset:4320
	global_load_b32 v16, v174, s[2:3] offset:1080
	ds_load_2addr_b32 v[2:3], v185 offset0:14 offset1:149
	s_wait_dscnt 0x0
	v_lshrrev_b32_e32 v6, 16, v3
	s_wait_loadcnt 0x6
	v_lshrrev_b32_e32 v4, 16, v0
	s_delay_alu instid0(VALU_DEP_1) | instskip(NEXT) | instid1(VALU_DEP_3)
	v_mul_f16_e32 v7, v3, v4
	v_mul_f16_e32 v4, v6, v4
	s_delay_alu instid0(VALU_DEP_2) | instskip(NEXT) | instid1(VALU_DEP_2)
	v_fmac_f16_e32 v7, v6, v0
	v_fma_f16 v0, v3, v0, -v4
	ds_load_2addr_b32 v[3:4], v153 offset0:28 offset1:163
	s_wait_loadcnt 0x5
	v_lshrrev_b32_e32 v6, 16, v5
	v_pack_b32_f16 v0, v0, v7
	s_wait_dscnt 0x0
	v_lshrrev_b32_e32 v8, 16, v3
	s_delay_alu instid0(VALU_DEP_3) | instskip(NEXT) | instid1(VALU_DEP_2)
	v_mul_f16_e32 v9, v3, v6
	v_mul_f16_e32 v6, v8, v6
	s_delay_alu instid0(VALU_DEP_2) | instskip(NEXT) | instid1(VALU_DEP_2)
	v_fmac_f16_e32 v9, v8, v5
	v_fma_f16 v3, v3, v5, -v6
	v_add_nc_u32_e32 v5, 0x600, v174
	s_delay_alu instid0(VALU_DEP_2)
	v_pack_b32_f16 v3, v3, v9
	ds_store_2addr_b32 v5, v0, v3 offset0:21 offset1:156
	s_clause 0x5
	global_load_b32 v0, v174, s[2:3] offset:4860
	global_load_b32 v3, v174, s[2:3] offset:5400
	;; [unrolled: 1-line block ×6, first 2 shown]
	ds_load_2addr_b32 v[5:6], v183 offset0:56 offset1:191
	s_wait_dscnt 0x0
	v_lshrrev_b32_e32 v8, 16, v6
	s_wait_loadcnt 0x5
	v_lshrrev_b32_e32 v7, 16, v0
	s_delay_alu instid0(VALU_DEP_1) | instskip(NEXT) | instid1(VALU_DEP_3)
	v_mul_f16_e32 v9, v6, v7
	v_mul_f16_e32 v7, v8, v7
	s_delay_alu instid0(VALU_DEP_2) | instskip(NEXT) | instid1(VALU_DEP_2)
	v_fmac_f16_e32 v9, v8, v0
	v_fma_f16 v0, v6, v0, -v7
	ds_load_2addr_b32 v[6:7], v209 offset0:70 offset1:205
	s_wait_loadcnt 0x4
	v_lshrrev_b32_e32 v8, 16, v3
	v_pack_b32_f16 v0, v0, v9
	s_wait_dscnt 0x0
	v_lshrrev_b32_e32 v10, 16, v6
	s_delay_alu instid0(VALU_DEP_3) | instskip(NEXT) | instid1(VALU_DEP_2)
	v_mul_f16_e32 v24, v6, v8
	v_mul_f16_e32 v8, v10, v8
	s_delay_alu instid0(VALU_DEP_2) | instskip(NEXT) | instid1(VALU_DEP_2)
	v_fmac_f16_e32 v24, v10, v3
	v_fma_f16 v3, v6, v3, -v8
	v_add_nc_u32_e32 v6, 0x1200, v174
	s_delay_alu instid0(VALU_DEP_2)
	v_pack_b32_f16 v3, v3, v24
	ds_store_2addr_b32 v6, v0, v3 offset0:63 offset1:198
	s_clause 0x2
	global_load_b32 v0, v174, s[2:3] offset:14580
	global_load_b32 v3, v174, s[2:3] offset:15120
	;; [unrolled: 1-line block ×3, first 2 shown]
	ds_load_2addr_b32 v[8:9], v173 offset0:54 offset1:189
	s_wait_dscnt 0x0
	v_lshrrev_b32_e32 v24, 16, v9
	s_wait_loadcnt 0x2
	v_lshrrev_b32_e32 v10, 16, v0
	s_delay_alu instid0(VALU_DEP_1) | instskip(NEXT) | instid1(VALU_DEP_3)
	v_mul_f16_e32 v25, v9, v10
	v_mul_f16_e32 v10, v24, v10
	s_delay_alu instid0(VALU_DEP_2) | instskip(NEXT) | instid1(VALU_DEP_2)
	v_fmac_f16_e32 v25, v24, v0
	v_fma_f16 v0, v9, v0, -v10
	ds_load_2addr_b32 v[9:10], v165 offset0:68 offset1:203
	s_wait_loadcnt 0x1
	v_lshrrev_b32_e32 v24, 16, v3
	v_pack_b32_f16 v0, v0, v25
	s_wait_dscnt 0x0
	v_lshrrev_b32_e32 v105, 16, v9
	s_delay_alu instid0(VALU_DEP_3) | instskip(NEXT) | instid1(VALU_DEP_2)
	v_mul_f16_e32 v106, v9, v24
	v_mul_f16_e32 v24, v105, v24
	s_delay_alu instid0(VALU_DEP_2) | instskip(NEXT) | instid1(VALU_DEP_2)
	v_fmac_f16_e32 v106, v105, v3
	v_fma_f16 v3, v9, v3, -v24
	v_add_nc_u32_e32 v9, 0x3800, v174
	s_delay_alu instid0(VALU_DEP_2)
	v_pack_b32_f16 v3, v3, v106
	ds_store_2addr_b32 v9, v0, v3 offset0:61 offset1:196
	global_load_b32 v0, v174, s[2:3] offset:540
	v_lshrrev_b32_e32 v3, 16, v1
	s_wait_loadcnt 0x0
	v_lshrrev_b32_e32 v9, 16, v0
	s_delay_alu instid0(VALU_DEP_1) | instskip(SKIP_1) | instid1(VALU_DEP_2)
	v_mul_f16_e32 v24, v3, v9
	v_mul_f16_e32 v9, v1, v9
	v_fma_f16 v1, v1, v0, -v24
	s_delay_alu instid0(VALU_DEP_2) | instskip(SKIP_2) | instid1(VALU_DEP_1)
	v_fmac_f16_e32 v9, v3, v0
	v_lshrrev_b32_e32 v0, 16, v2
	v_lshrrev_b32_e32 v3, 16, v16
	v_mul_f16_e32 v24, v0, v3
	v_mul_f16_e32 v3, v2, v3
	s_delay_alu instid0(VALU_DEP_2) | instskip(NEXT) | instid1(VALU_DEP_2)
	v_fma_f16 v2, v2, v16, -v24
	v_fmac_f16_e32 v3, v0, v16
	v_pack_b32_f16 v0, v1, v9
	s_delay_alu instid0(VALU_DEP_2) | instskip(SKIP_4) | instid1(VALU_DEP_2)
	v_pack_b32_f16 v1, v2, v3
	v_add_nc_u32_e32 v2, 0x200, v174
	ds_store_2addr_b32 v2, v0, v1 offset0:7 offset1:142
	v_lshrrev_b32_e32 v1, 16, v12
	v_lshrrev_b32_e32 v0, 16, v4
	v_mul_f16_e32 v3, v4, v1
	s_delay_alu instid0(VALU_DEP_2) | instskip(NEXT) | instid1(VALU_DEP_2)
	v_mul_f16_e32 v2, v0, v1
	v_fmac_f16_e32 v3, v0, v12
	ds_load_2addr_b32 v[0:1], v181 offset0:42 offset1:177
	v_fma_f16 v2, v4, v12, -v2
	v_lshrrev_b32_e32 v4, 16, v13
	s_delay_alu instid0(VALU_DEP_2) | instskip(SKIP_4) | instid1(VALU_DEP_2)
	v_pack_b32_f16 v2, v2, v3
	v_add_nc_u32_e32 v3, 0xa00, v174
	s_wait_dscnt 0x0
	v_lshrrev_b32_e32 v9, 16, v0
	v_mul_f16_e32 v12, v0, v4
	v_mul_f16_e32 v4, v9, v4
	s_delay_alu instid0(VALU_DEP_2) | instskip(NEXT) | instid1(VALU_DEP_2)
	v_fmac_f16_e32 v12, v9, v13
	v_fma_f16 v0, v0, v13, -v4
	s_delay_alu instid0(VALU_DEP_1) | instskip(SKIP_3) | instid1(VALU_DEP_1)
	v_pack_b32_f16 v0, v0, v12
	ds_store_2addr_b32 v3, v2, v0 offset0:35 offset1:170
	v_lshrrev_b32_e32 v0, 16, v1
	v_lshrrev_b32_e32 v2, 16, v14
	v_mul_f16_e32 v3, v0, v2
	v_mul_f16_e32 v2, v1, v2
	s_delay_alu instid0(VALU_DEP_2) | instskip(NEXT) | instid1(VALU_DEP_2)
	v_fma_f16 v1, v1, v14, -v3
	v_fmac_f16_e32 v2, v0, v14
	v_lshrrev_b32_e32 v0, 16, v5
	v_lshrrev_b32_e32 v3, 16, v15
	s_delay_alu instid0(VALU_DEP_1) | instskip(SKIP_1) | instid1(VALU_DEP_2)
	v_mul_f16_e32 v4, v0, v3
	v_mul_f16_e32 v3, v5, v3
	v_fma_f16 v4, v5, v15, -v4
	s_delay_alu instid0(VALU_DEP_2) | instskip(SKIP_1) | instid1(VALU_DEP_2)
	v_fmac_f16_e32 v3, v0, v15
	v_pack_b32_f16 v0, v1, v2
	v_pack_b32_f16 v1, v4, v3
	ds_store_2addr_b32 v108, v0, v1 offset0:49 offset1:184
	s_clause 0x5
	global_load_b32 v2, v174, s[2:3] offset:10260
	global_load_b32 v3, v174, s[2:3] offset:10800
	;; [unrolled: 1-line block ×6, first 2 shown]
	ds_load_2addr_b32 v[0:1], v170 offset0:62 offset1:197
	s_wait_dscnt 0x0
	v_lshrrev_b32_e32 v14, 16, v1
	s_wait_loadcnt 0x5
	v_lshrrev_b32_e32 v4, 16, v2
	s_delay_alu instid0(VALU_DEP_1) | instskip(NEXT) | instid1(VALU_DEP_3)
	v_mul_f16_e32 v15, v1, v4
	v_mul_f16_e32 v4, v14, v4
	s_delay_alu instid0(VALU_DEP_2) | instskip(NEXT) | instid1(VALU_DEP_2)
	v_fmac_f16_e32 v15, v14, v2
	v_fma_f16 v4, v1, v2, -v4
	ds_load_2addr_b32 v[1:2], v180 offset0:12 offset1:147
	s_wait_loadcnt 0x4
	v_lshrrev_b32_e32 v14, 16, v3
	s_wait_dscnt 0x0
	v_lshrrev_b32_e32 v16, 16, v1
	s_delay_alu instid0(VALU_DEP_2) | instskip(NEXT) | instid1(VALU_DEP_2)
	v_mul_f16_e32 v24, v1, v14
	v_mul_f16_e32 v14, v16, v14
	s_delay_alu instid0(VALU_DEP_2) | instskip(NEXT) | instid1(VALU_DEP_2)
	v_fmac_f16_e32 v24, v16, v3
	v_fma_f16 v1, v1, v3, -v14
	v_pack_b32_f16 v3, v4, v15
	v_lshrrev_b32_e32 v4, 16, v6
	s_delay_alu instid0(VALU_DEP_3) | instskip(NEXT) | instid1(VALU_DEP_2)
	v_pack_b32_f16 v1, v1, v24
	v_mul_f16_e32 v15, v8, v4
	ds_store_2addr_b32 v167, v3, v1 offset0:5 offset1:140
	global_load_b32 v1, v174, s[2:3] offset:13500
	v_lshrrev_b32_e32 v3, 16, v8
	s_delay_alu instid0(VALU_DEP_1)
	v_mul_f16_e32 v14, v3, v4
	v_fmac_f16_e32 v15, v3, v6
	ds_load_2addr_b32 v[3:4], v177 offset0:40 offset1:175
	v_fma_f16 v8, v8, v6, -v14
	s_wait_dscnt 0x0
	v_lshrrev_b32_e32 v14, 16, v4
	s_wait_loadcnt 0x0
	v_lshrrev_b32_e32 v6, 16, v1
	s_delay_alu instid0(VALU_DEP_1) | instskip(NEXT) | instid1(VALU_DEP_3)
	v_mul_f16_e32 v16, v4, v6
	v_mul_f16_e32 v6, v14, v6
	s_delay_alu instid0(VALU_DEP_2) | instskip(NEXT) | instid1(VALU_DEP_2)
	v_fmac_f16_e32 v16, v14, v1
	v_fma_f16 v1, v4, v1, -v6
	v_pack_b32_f16 v4, v8, v15
	global_load_b32 v6, v174, s[2:3] offset:9180
	v_pack_b32_f16 v1, v1, v16
	ds_store_2addr_b32 v107, v1, v4 offset0:47 offset1:182
	v_lshrrev_b32_e32 v4, 16, v13
	v_lshrrev_b32_e32 v1, 16, v0
	s_delay_alu instid0(VALU_DEP_2) | instskip(NEXT) | instid1(VALU_DEP_2)
	v_mul_f16_e32 v14, v0, v4
	v_mul_f16_e32 v8, v1, v4
	s_delay_alu instid0(VALU_DEP_2) | instskip(SKIP_1) | instid1(VALU_DEP_3)
	v_fmac_f16_e32 v14, v1, v13
	v_lshrrev_b32_e32 v1, 16, v5
	v_fma_f16 v8, v0, v13, -v8
	v_lshrrev_b32_e32 v0, 16, v2
	s_delay_alu instid0(VALU_DEP_3) | instskip(NEXT) | instid1(VALU_DEP_2)
	v_mul_f16_e32 v13, v2, v1
	v_mul_f16_e32 v4, v0, v1
	v_lshrrev_b32_e32 v1, 16, v3
	s_delay_alu instid0(VALU_DEP_3) | instskip(SKIP_4) | instid1(VALU_DEP_1)
	v_fmac_f16_e32 v13, v0, v5
	global_load_b32 v0, v174, s[2:3] offset:12960
	v_fma_f16 v15, v2, v5, -v4
	s_wait_loadcnt 0x0
	v_lshrrev_b32_e32 v2, 16, v0
	v_mul_f16_e32 v4, v1, v2
	v_mul_f16_e32 v5, v3, v2
	global_load_b32 v2, v174, s[2:3] offset:6480
	v_fma_f16 v16, v3, v0, -v4
	v_fmac_f16_e32 v5, v1, v0
	ds_load_2addr_b32 v[0:1], v178 offset0:84 offset1:219
	s_wait_dscnt 0x0
	v_lshrrev_b32_e32 v4, 16, v0
	s_wait_loadcnt 0x0
	v_lshrrev_b32_e32 v3, 16, v2
	s_delay_alu instid0(VALU_DEP_1) | instskip(NEXT) | instid1(VALU_DEP_3)
	v_mul_f16_e32 v24, v0, v3
	v_mul_f16_e32 v3, v4, v3
	s_delay_alu instid0(VALU_DEP_2) | instskip(NEXT) | instid1(VALU_DEP_2)
	v_fmac_f16_e32 v24, v4, v2
	v_fma_f16 v25, v0, v2, -v3
	v_lshrrev_b32_e32 v0, 16, v1
	v_lshrrev_b32_e32 v2, 16, v17
	s_delay_alu instid0(VALU_DEP_1)
	v_mul_f16_e32 v3, v0, v2
	v_mul_f16_e32 v105, v1, v2
	global_load_b32 v2, v174, s[2:3] offset:8100
	v_fma_f16 v106, v1, v17, -v3
	v_fmac_f16_e32 v105, v0, v17
	ds_load_2addr_b32 v[0:1], v182 offset0:98 offset1:233
	s_wait_dscnt 0x0
	v_lshrrev_b32_e32 v4, 16, v1
	s_wait_loadcnt 0x0
	v_lshrrev_b32_e32 v3, 16, v2
	s_delay_alu instid0(VALU_DEP_1) | instskip(NEXT) | instid1(VALU_DEP_3)
	v_mul_f16_e32 v17, v1, v3
	v_mul_f16_e32 v3, v4, v3
	s_delay_alu instid0(VALU_DEP_2) | instskip(NEXT) | instid1(VALU_DEP_2)
	v_fmac_f16_e32 v17, v4, v2
	v_fma_f16 v3, v1, v2, -v3
	ds_load_2addr_b32 v[1:2], v148 offset0:112 offset1:247
	v_lshrrev_b32_e32 v4, 16, v18
	v_pack_b32_f16 v3, v3, v17
	s_wait_dscnt 0x0
	v_lshrrev_b32_e32 v107, 16, v1
	s_delay_alu instid0(VALU_DEP_3) | instskip(NEXT) | instid1(VALU_DEP_2)
	v_mul_f16_e32 v108, v1, v4
	v_mul_f16_e32 v4, v107, v4
	s_delay_alu instid0(VALU_DEP_2) | instskip(NEXT) | instid1(VALU_DEP_2)
	v_fmac_f16_e32 v108, v107, v18
	v_fma_f16 v1, v1, v18, -v4
	s_delay_alu instid0(VALU_DEP_1) | instskip(SKIP_3) | instid1(VALU_DEP_1)
	v_pack_b32_f16 v1, v1, v108
	ds_store_2addr_b32 v23, v3, v1 offset0:105 offset1:240
	v_lshrrev_b32_e32 v1, 16, v7
	v_lshrrev_b32_e32 v3, 16, v20
	v_mul_f16_e32 v4, v1, v3
	v_mul_f16_e32 v17, v7, v3
	s_delay_alu instid0(VALU_DEP_2)
	v_fma_f16 v7, v7, v20, -v4
	ds_load_2addr_b32 v[3:4], v179 offset0:26 offset1:161
	v_fmac_f16_e32 v17, v1, v20
	v_lshrrev_b32_e32 v1, 16, v9
	s_wait_dscnt 0x0
	v_lshrrev_b32_e32 v18, 16, v3
	s_delay_alu instid0(VALU_DEP_2) | instskip(NEXT) | instid1(VALU_DEP_2)
	v_mul_f16_e32 v20, v3, v1
	v_mul_f16_e32 v1, v18, v1
	s_delay_alu instid0(VALU_DEP_2) | instskip(NEXT) | instid1(VALU_DEP_2)
	v_fmac_f16_e32 v20, v18, v9
	v_fma_f16 v1, v3, v9, -v1
	v_pack_b32_f16 v3, v15, v13
	s_delay_alu instid0(VALU_DEP_2)
	v_pack_b32_f16 v1, v1, v20
	ds_store_2addr_b32 v21, v3, v1 offset0:19 offset1:154
	v_pack_b32_f16 v1, v25, v24
	v_pack_b32_f16 v3, v7, v17
	ds_store_2addr_b32 v189, v3, v1 offset0:77 offset1:212
	v_lshrrev_b32_e32 v1, 16, v0
	v_lshrrev_b32_e32 v3, 16, v19
	s_delay_alu instid0(VALU_DEP_1) | instskip(SKIP_1) | instid1(VALU_DEP_2)
	v_mul_f16_e32 v7, v1, v3
	v_mul_f16_e32 v3, v0, v3
	v_fma_f16 v0, v0, v19, -v7
	s_delay_alu instid0(VALU_DEP_2) | instskip(SKIP_2) | instid1(VALU_DEP_3)
	v_fmac_f16_e32 v3, v1, v19
	v_lshrrev_b32_e32 v1, 16, v2
	v_lshrrev_b32_e32 v7, 16, v6
	v_pack_b32_f16 v0, v0, v3
	v_lshrrev_b32_e32 v3, 16, v11
	s_delay_alu instid0(VALU_DEP_3) | instskip(SKIP_1) | instid1(VALU_DEP_2)
	v_mul_f16_e32 v9, v1, v7
	v_mul_f16_e32 v7, v2, v7
	v_fma_f16 v2, v2, v6, -v9
	s_delay_alu instid0(VALU_DEP_2)
	v_fmac_f16_e32 v7, v1, v6
	v_pack_b32_f16 v1, v106, v105
	ds_store_2addr_b32 v166, v1, v0 offset0:91 offset1:226
	v_pack_b32_f16 v0, v8, v14
	v_pack_b32_f16 v1, v2, v7
	ds_store_2addr_b32 v26, v1, v0 offset0:119 offset1:254
	v_lshrrev_b32_e32 v0, 16, v4
	v_lshrrev_b32_e32 v1, 16, v12
	s_delay_alu instid0(VALU_DEP_1) | instskip(SKIP_1) | instid1(VALU_DEP_2)
	v_mul_f16_e32 v2, v0, v1
	v_mul_f16_e32 v1, v4, v1
	v_fma_f16 v2, v4, v12, -v2
	s_delay_alu instid0(VALU_DEP_2) | instskip(SKIP_1) | instid1(VALU_DEP_2)
	v_fmac_f16_e32 v1, v0, v12
	v_lshrrev_b32_e32 v0, 16, v10
	v_pack_b32_f16 v1, v2, v1
	s_delay_alu instid0(VALU_DEP_2) | instskip(SKIP_1) | instid1(VALU_DEP_2)
	v_mul_f16_e32 v4, v0, v3
	v_mul_f16_e32 v3, v10, v3
	v_fma_f16 v4, v10, v11, -v4
	s_delay_alu instid0(VALU_DEP_2)
	v_fmac_f16_e32 v3, v0, v11
	v_pack_b32_f16 v0, v16, v5
	ds_store_2addr_b32 v22, v1, v0 offset0:33 offset1:168
	v_pack_b32_f16 v0, v4, v3
	ds_store_b32 v174, v0 offset:15660
	global_wb scope:SCOPE_SE
	s_wait_dscnt 0x0
	s_barrier_signal -1
	s_barrier_wait -1
	global_inv scope:SCOPE_SE
	ds_load_2addr_b32 v[107:108], v170 offset0:62 offset1:197
	ds_load_2addr_b32 v[105:106], v177 offset0:40 offset1:175
	;; [unrolled: 1-line block ×4, first 2 shown]
	ds_load_2addr_b32 v[23:24], v174 offset1:135
	ds_load_2addr_b32 v[39:40], v180 offset0:12 offset1:147
	ds_load_2addr_b32 v[21:22], v173 offset0:54 offset1:189
	;; [unrolled: 1-line block ×5, first 2 shown]
	s_wait_dscnt 0x9
	v_lshrrev_b32_e32 v15, 16, v107
	s_wait_dscnt 0x8
	v_sub_f16_e32 v0, v107, v105
	s_wait_dscnt 0x6
	v_sub_f16_e32 v1, v46, v8
	v_lshrrev_b32_e32 v10, 16, v46
	v_lshrrev_b32_e32 v16, 16, v8
	;; [unrolled: 1-line block ×3, first 2 shown]
	s_wait_dscnt 0x5
	v_lshrrev_b32_e32 v27, 16, v23
	v_add_f16_e32 v0, v1, v0
	v_add_f16_e32 v1, v8, v105
	v_sub_f16_e32 v50, v10, v15
	v_sub_f16_e32 v49, v16, v11
	;; [unrolled: 1-line block ×4, first 2 shown]
	v_fma_f16 v18, -0.5, v1, v23
	v_sub_f16_e32 v1, v15, v11
	s_wait_dscnt 0x1
	v_lshrrev_b32_e32 v13, 16, v30
	v_lshrrev_b32_e32 v14, 16, v40
	;; [unrolled: 1-line block ×3, first 2 shown]
	v_fmamk_f16 v20, v50, 0x3b9c, v18
	v_fmac_f16_e32 v18, 0xbb9c, v50
	v_lshrrev_b32_e32 v166, 16, v22
	v_sub_f16_e32 v44, v13, v14
	s_wait_dscnt 0x0
	v_lshrrev_b32_e32 v167, 16, v26
	v_fmac_f16_e32 v20, 0xb8b4, v49
	v_fmac_f16_e32 v18, 0x38b4, v49
	v_sub_f16_e64 v43, v116, v166
	v_sub_f16_e64 v36, v14, v166
	v_sub_f16_e32 v42, v30, v40
	v_fmac_f16_e32 v20, 0x34f2, v0
	v_fmac_f16_e32 v18, 0x34f2, v0
	v_add_f16_e32 v0, v10, v15
	v_sub_f16_e32 v35, v38, v22
	s_delay_alu instid0(VALU_DEP_2) | instskip(SKIP_3) | instid1(VALU_DEP_3)
	v_fma_f16 v33, -0.5, v0, v27
	v_add_f16_e32 v0, v16, v11
	v_sub_f16_e32 v11, v11, v15
	v_sub_f16_e32 v15, v105, v107
	v_fmac_f16_e32 v27, -0.5, v0
	v_sub_f16_e32 v0, v10, v16
	v_sub_f16_e32 v10, v16, v10
	v_sub_f16_e32 v16, v8, v46
	v_pk_add_f16 v8, v23, v8
	v_fmamk_f16 v19, v48, 0xbb9c, v27
	v_fmac_f16_e32 v27, 0x3b9c, v48
	v_add_f16_e32 v0, v0, v1
	v_sub_f16_e32 v1, v30, v38
	v_add_f16_e32 v41, v10, v11
	v_fmac_f16_e32 v19, 0x38b4, v45
	v_fmac_f16_e32 v27, 0xb8b4, v45
	v_sub_f16_e32 v10, v116, v13
	v_sub_f16_e64 v11, v166, v14
	v_pk_add_f16 v8, v8, v46
	v_fmac_f16_e32 v19, 0x34f2, v0
	v_fmac_f16_e32 v27, 0x34f2, v0
	v_sub_f16_e32 v0, v40, v22
	v_add_f16_e32 v28, v10, v11
	v_add_f16_e32 v10, v30, v40
	v_pk_add_f16 v8, v8, v107
	s_delay_alu instid0(VALU_DEP_4) | instskip(SKIP_1) | instid1(VALU_DEP_4)
	v_add_f16_e32 v0, v1, v0
	v_add_f16_e32 v1, v38, v22
	v_fma_f16 v2, -0.5, v10, v26
	s_delay_alu instid0(VALU_DEP_4) | instskip(NEXT) | instid1(VALU_DEP_3)
	v_pk_add_f16 v8, v8, v105
	v_fma_f16 v1, -0.5, v1, v26
	s_delay_alu instid0(VALU_DEP_3) | instskip(SKIP_1) | instid1(VALU_DEP_3)
	v_fmamk_f16 v11, v43, 0xbb9c, v2
	v_fmac_f16_e32 v2, 0x3b9c, v43
	v_fmamk_f16 v115, v44, 0x3b9c, v1
	v_fmac_f16_e32 v1, 0xbb9c, v44
	s_delay_alu instid0(VALU_DEP_4) | instskip(NEXT) | instid1(VALU_DEP_4)
	v_fmac_f16_e32 v11, 0xb8b4, v44
	v_fmac_f16_e32 v2, 0x38b4, v44
	s_delay_alu instid0(VALU_DEP_4) | instskip(NEXT) | instid1(VALU_DEP_4)
	v_fmac_f16_e32 v115, 0xb8b4, v43
	v_fmac_f16_e32 v1, 0x38b4, v43
	s_delay_alu instid0(VALU_DEP_2) | instskip(NEXT) | instid1(VALU_DEP_2)
	v_fmac_f16_e32 v115, 0x34f2, v0
	v_fmac_f16_e32 v1, 0x34f2, v0
	v_add_f16_e32 v0, v13, v14
	v_sub_f16_e32 v14, v38, v30
	s_delay_alu instid0(VALU_DEP_2) | instskip(SKIP_1) | instid1(VALU_DEP_2)
	v_fma_f16 v5, -0.5, v0, v167
	v_add_f16_e64 v0, v116, v166
	v_fmamk_f16 v10, v35, 0x3b9c, v5
	s_delay_alu instid0(VALU_DEP_2) | instskip(SKIP_4) | instid1(VALU_DEP_4)
	v_fmac_f16_e64 v167, -0.5, v0
	v_sub_f16_e32 v0, v13, v116
	v_sub_f16_e32 v13, v22, v40
	v_fmac_f16_e32 v5, 0xbb9c, v35
	v_fmac_f16_e32 v10, 0x38b4, v42
	v_add_f16_e32 v3, v0, v36
	v_fma_f16 v0, 0xbb9c, v42, v167
	v_fmac_f16_e64 v167, 0x3b9c, v42
	v_add_f16_e32 v31, v14, v13
	v_fmac_f16_e32 v10, 0x34f2, v28
	v_add_f16_e32 v36, v16, v15
	v_fmac_f16_e32 v0, 0x38b4, v35
	v_fmac_f16_e64 v167, 0xb8b4, v35
	v_fmac_f16_e32 v11, 0x34f2, v31
	v_fmac_f16_e32 v5, 0xb8b4, v42
	;; [unrolled: 1-line block ×4, first 2 shown]
	v_fmac_f16_e64 v167, 0x34f2, v3
	v_mul_f16_e32 v4, 0x38b4, v11
	v_mul_f16_e32 v3, 0xb8b4, v10
	v_fmac_f16_e32 v5, 0x34f2, v28
	v_mul_f16_e32 v32, 0xbb9c, v0
	v_mul_f16_e64 v17, 0xbb9c, v167
	v_mul_f16_e64 v12, 0xb4f2, v167
	v_mul_f16_e32 v34, 0x34f2, v0
	v_fmac_f16_e32 v4, 0x3a79, v10
	v_fmac_f16_e32 v32, 0x34f2, v115
	;; [unrolled: 1-line block ×5, first 2 shown]
	v_add_f16_e32 v10, v46, v107
	v_fmac_f16_e32 v3, 0x3a79, v11
	v_add_f16_e32 v0, v18, v17
	v_add_f16_e32 v1, v27, v12
	;; [unrolled: 1-line block ×3, first 2 shown]
	s_delay_alu instid0(VALU_DEP_2)
	v_pack_b32_f16 v7, v0, v1
	v_add_f16_e32 v0, v20, v32
	v_fma_f16 v1, -0.5, v10, v23
	v_pk_add_f16 v10, v26, v38
	v_fmamk_f16 v26, v45, 0x3b9c, v33
	v_fmac_f16_e32 v33, 0xbb9c, v45
	v_pack_b32_f16 v6, v0, v115
	v_fmamk_f16 v0, v49, 0xbb9c, v1
	v_pk_add_f16 v10, v10, v30
	v_fmac_f16_e32 v26, 0x38b4, v48
	v_fmac_f16_e32 v1, 0x3b9c, v49
	;; [unrolled: 1-line block ×4, first 2 shown]
	v_pk_add_f16 v10, v10, v40
	v_fmac_f16_e32 v26, 0x34f2, v41
	v_fmac_f16_e32 v1, 0x38b4, v50
	;; [unrolled: 1-line block ×4, first 2 shown]
	v_pk_add_f16 v30, v10, v22
	v_add_f16_e32 v11, v26, v4
	v_fmac_f16_e32 v1, 0x34f2, v36
	s_delay_alu instid0(VALU_DEP_4) | instskip(NEXT) | instid1(VALU_DEP_4)
	v_add_f16_e32 v10, v0, v3
	v_pk_add_f16 v13, v8, v30
	v_sub_f16_e32 v0, v0, v3
	v_sub_f16_e32 v3, v20, v32
	v_lshrrev_b32_e32 v20, 16, v24
	v_pack_b32_f16 v14, v10, v11
	ds_load_2addr_b32 v[22:23], v153 offset0:28 offset1:163
	ds_load_2addr_b32 v[166:167], v209 offset0:70 offset1:205
	;; [unrolled: 1-line block ×5, first 2 shown]
	global_wb scope:SCOPE_SE
	s_wait_dscnt 0x0
	s_barrier_signal -1
	s_barrier_wait -1
	global_inv scope:SCOPE_SE
	scratch_load_b32 v38, off, off offset:248 th:TH_LOAD_LU ; 4-byte Folded Reload
	v_lshrrev_b32_e32 v35, 16, v22
	v_lshrrev_b32_e32 v32, 16, v166
	;; [unrolled: 1-line block ×3, first 2 shown]
	v_sub_f16_e64 v41, v166, v15
	s_wait_loadcnt 0x0
	ds_store_2addr_b64 v38, v[13:14], v[6:7] offset1:1
	v_sub_f16_e32 v6, v19, v34
	v_sub_f16_e32 v7, v26, v4
	v_pk_add_f16 v14, v8, v30 neg_lo:[0,1] neg_hi:[0,1]
	v_sub_f16_e32 v8, v47, v9
	s_delay_alu instid0(VALU_DEP_4) | instskip(NEXT) | instid1(VALU_DEP_4)
	v_pack_b32_f16 v4, v3, v6
	v_pack_b32_f16 v3, v0, v7
	v_mul_f16_e32 v0, 0xb8b4, v5
	v_mul_f16_e32 v5, 0xba79, v5
	v_sub_f16_e32 v7, v9, v47
	s_delay_alu instid0(VALU_DEP_3) | instskip(NEXT) | instid1(VALU_DEP_3)
	v_fmac_f16_e32 v0, 0xba79, v2
	v_fmac_f16_e32 v5, 0x38b4, v2
	s_delay_alu instid0(VALU_DEP_2) | instskip(NEXT) | instid1(VALU_DEP_2)
	v_add_f16_e32 v2, v1, v0
	v_add_f16_e32 v6, v33, v5
	v_sub_f16_e32 v0, v1, v0
	v_sub_f16_e32 v1, v33, v5
	;; [unrolled: 1-line block ×3, first 2 shown]
	v_lshrrev_b32_e32 v33, 16, v15
	v_pack_b32_f16 v13, v2, v6
	v_sub_f16_e32 v2, v18, v17
	v_pack_b32_f16 v1, v0, v1
	v_lshrrev_b32_e32 v6, 16, v47
	v_lshrrev_b32_e32 v17, 16, v106
	ds_store_2addr_b64 v38, v[13:14], v[3:4] offset0:2 offset1:3
	v_sub_f16_e32 v3, v27, v12
	v_sub_f16_e32 v4, v108, v106
	v_add_f16_e32 v13, v9, v106
	v_lshrrev_b32_e32 v12, 16, v9
	v_lshrrev_b32_e32 v27, 16, v115
	v_pack_b32_f16 v0, v2, v3
	v_lshrrev_b32_e32 v2, 16, v108
	v_sub_f16_e32 v34, v32, v33
	v_sub_f16_e32 v18, v12, v17
	;; [unrolled: 1-line block ×3, first 2 shown]
	ds_store_b64 v38, v[0:1] offset:32
	v_pk_add_f16 v0, v24, v9
	v_add_f16_e32 v1, v47, v108
	v_sub_f16_e32 v9, v9, v106
	v_sub_f16_e32 v38, v28, v33
	;; [unrolled: 1-line block ×3, first 2 shown]
	v_pk_add_f16 v0, v0, v47
	v_fma_f16 v19, -0.5, v1, v24
	v_sub_f16_e32 v1, v2, v17
	s_delay_alu instid0(VALU_DEP_4) | instskip(NEXT) | instid1(VALU_DEP_4)
	v_add_f16_e32 v3, v7, v3
	v_pk_add_f16 v0, v0, v108
	v_sub_f16_e32 v7, v33, v28
	s_delay_alu instid0(VALU_DEP_2) | instskip(SKIP_3) | instid1(VALU_DEP_1)
	v_pk_add_f16 v14, v0, v106
	v_add_f16_e32 v0, v8, v4
	v_fma_f16 v4, -0.5, v13, v24
	v_sub_f16_e32 v8, v6, v2
	v_fmamk_f16 v13, v8, 0x3b9c, v4
	v_fmac_f16_e32 v4, 0xbb9c, v8
	s_delay_alu instid0(VALU_DEP_2) | instskip(NEXT) | instid1(VALU_DEP_2)
	v_fmac_f16_e32 v13, 0xb8b4, v18
	v_fmac_f16_e32 v4, 0x38b4, v18
	s_delay_alu instid0(VALU_DEP_2) | instskip(NEXT) | instid1(VALU_DEP_2)
	v_fmac_f16_e32 v13, 0x34f2, v0
	v_fmac_f16_e32 v4, 0x34f2, v0
	v_add_f16_e32 v0, v6, v2
	v_sub_f16_e32 v2, v17, v2
	s_delay_alu instid0(VALU_DEP_2) | instskip(SKIP_2) | instid1(VALU_DEP_2)
	v_fma_f16 v24, -0.5, v0, v20
	v_add_f16_e32 v0, v12, v17
	v_sub_f16_e64 v17, v166, v115
	v_fmac_f16_e32 v20, -0.5, v0
	v_sub_f16_e32 v0, v6, v12
	v_sub_f16_e32 v6, v12, v6
	;; [unrolled: 1-line block ×3, first 2 shown]
	s_delay_alu instid0(VALU_DEP_4)
	v_fmamk_f16 v26, v5, 0xbb9c, v20
	v_fmac_f16_e32 v20, 0x3b9c, v5
	v_add_f16_e32 v0, v0, v1
	v_sub_f16_e64 v1, v115, v166
	v_add_f16_e32 v2, v6, v2
	v_fmac_f16_e32 v26, 0x38b4, v9
	v_fmac_f16_e32 v20, 0xb8b4, v9
	v_sub_f16_e32 v6, v32, v27
	v_add_f16_e32 v12, v17, v12
	s_delay_alu instid0(VALU_DEP_4) | instskip(NEXT) | instid1(VALU_DEP_4)
	v_fmac_f16_e32 v26, 0x34f2, v0
	v_fmac_f16_e32 v20, 0x34f2, v0
	v_sub_f16_e32 v0, v10, v15
	v_add_f16_e32 v17, v6, v7
	v_add_f16_e32 v6, v115, v10
	s_delay_alu instid0(VALU_DEP_3) | instskip(SKIP_1) | instid1(VALU_DEP_1)
	v_add_f16_e32 v0, v1, v0
	v_add_f16_e64 v1, v166, v15
	v_fma_f16 v1, -0.5, v1, v22
	s_delay_alu instid0(VALU_DEP_1) | instskip(SKIP_1) | instid1(VALU_DEP_2)
	v_fmamk_f16 v31, v30, 0x3b9c, v1
	v_fmac_f16_e32 v1, 0xbb9c, v30
	v_fmac_f16_e32 v31, 0xb8b4, v34
	s_delay_alu instid0(VALU_DEP_2) | instskip(NEXT) | instid1(VALU_DEP_2)
	v_fmac_f16_e32 v1, 0x38b4, v34
	v_fmac_f16_e32 v31, 0x34f2, v0
	s_delay_alu instid0(VALU_DEP_2) | instskip(SKIP_1) | instid1(VALU_DEP_1)
	v_fmac_f16_e32 v1, 0x34f2, v0
	v_add_f16_e32 v0, v27, v28
	v_fma_f16 v36, -0.5, v0, v35
	v_add_f16_e32 v0, v32, v33
	s_delay_alu instid0(VALU_DEP_1) | instskip(SKIP_4) | instid1(VALU_DEP_4)
	v_fmac_f16_e32 v35, -0.5, v0
	v_sub_f16_e32 v0, v27, v32
	v_fma_f16 v27, -0.5, v6, v22
	v_fmamk_f16 v6, v41, 0x3b9c, v36
	v_fmac_f16_e32 v36, 0xbb9c, v41
	v_add_f16_e32 v0, v0, v38
	v_sub_f16_e32 v38, v115, v10
	v_fmamk_f16 v7, v34, 0xbb9c, v27
	v_fmac_f16_e32 v27, 0x3b9c, v34
	s_delay_alu instid0(VALU_DEP_3) | instskip(SKIP_1) | instid1(VALU_DEP_4)
	v_fmamk_f16 v40, v38, 0xbb9c, v35
	v_fmac_f16_e32 v35, 0x3b9c, v38
	v_fmac_f16_e32 v7, 0xb8b4, v30
	;; [unrolled: 1-line block ×12, first 2 shown]
	v_mul_f16_e32 v28, 0xb8b4, v6
	v_fmac_f16_e32 v27, 0x34f2, v12
	v_mul_f16_e32 v43, 0xbb9c, v40
	v_mul_f16_e32 v42, 0xbb9c, v35
	;; [unrolled: 1-line block ×4, first 2 shown]
	v_fmac_f16_e32 v28, 0x3a79, v7
	v_fmac_f16_e32 v43, 0x34f2, v31
	;; [unrolled: 1-line block ×5, first 2 shown]
	v_sub_f16_e32 v12, v37, v21
	v_sub_f16_e64 v30, v167, v16
	v_add_f16_e32 v0, v4, v42
	v_add_f16_e32 v1, v20, v35
	v_add_f16_e32 v31, v26, v40
	s_delay_alu instid0(VALU_DEP_2) | instskip(SKIP_1) | instid1(VALU_DEP_1)
	v_pack_b32_f16 v1, v0, v1
	v_add_f16_e32 v0, v13, v43
	v_pack_b32_f16 v0, v0, v31
	v_mul_f16_e32 v31, 0x38b4, v7
	v_sub_f16_e32 v7, v26, v40
	v_fmamk_f16 v26, v9, 0x3b9c, v24
	v_fmac_f16_e32 v24, 0xbb9c, v9
	s_delay_alu instid0(VALU_DEP_4)
	v_fmac_f16_e32 v31, 0x3a79, v6
	v_sub_f16_e32 v6, v13, v43
	v_fmamk_f16 v13, v18, 0xbb9c, v19
	v_fmac_f16_e32 v19, 0x3b9c, v18
	v_fmac_f16_e32 v26, 0x38b4, v5
	;; [unrolled: 1-line block ×3, first 2 shown]
	v_pack_b32_f16 v7, v6, v7
	v_fmac_f16_e32 v13, 0xb8b4, v8
	v_fmac_f16_e32 v19, 0x38b4, v8
	v_pk_add_f16 v8, v22, v166
	v_fmac_f16_e32 v26, 0x34f2, v2
	v_fmac_f16_e32 v24, 0x34f2, v2
	;; [unrolled: 1-line block ×4, first 2 shown]
	v_pk_add_f16 v8, v8, v115
	v_mul_f16_e32 v2, 0xb8b4, v36
	v_mul_f16_e32 v3, 0xba79, v36
	v_add_f16_e32 v9, v13, v28
	v_add_f16_e32 v5, v26, v31
	v_pk_add_f16 v8, v8, v10
	v_fmac_f16_e32 v2, 0xba79, v27
	v_fmac_f16_e32 v3, 0x38b4, v27
	v_sub_f16_e32 v6, v13, v28
	v_sub_f16_e32 v32, v26, v31
	v_pk_add_f16 v10, v8, v15
	v_pack_b32_f16 v9, v9, v5
	v_add_f16_e32 v5, v19, v2
	v_lshrrev_b32_e32 v18, 16, v25
	v_pack_b32_f16 v6, v6, v32
	v_pk_add_f16 v8, v14, v10
	v_pk_add_f16 v14, v14, v10 neg_lo:[0,1] neg_hi:[0,1]
	v_add_f16_e32 v10, v24, v3
	v_sub_f16_e64 v27, v116, v167
	v_sub_f16_e32 v22, v16, v11
	v_lshrrev_b32_e32 v28, 16, v167
	v_sub_f16_e64 v26, v167, v116
	v_pack_b32_f16 v13, v5, v10
	ds_store_2addr_b64 v194, v[8:9], v[0:1] offset1:1
	ds_store_2addr_b64 v194, v[13:14], v[6:7] offset0:2 offset1:3
	v_sub_f16_e32 v0, v4, v42
	v_sub_f16_e32 v1, v19, v2
	;; [unrolled: 1-line block ×5, first 2 shown]
	v_lshrrev_b32_e32 v6, 16, v29
	v_sub_f16_e32 v8, v29, v37
	v_pack_b32_f16 v1, v1, v2
	v_pack_b32_f16 v0, v0, v3
	v_lshrrev_b32_e32 v2, 16, v39
	v_add_f16_e32 v10, v37, v21
	v_lshrrev_b32_e32 v9, 16, v37
	v_lshrrev_b32_e32 v14, 16, v21
	ds_store_b64 v194, v[0:1] offset:32
	v_pk_add_f16 v0, v25, v37
	v_add_f16_e32 v1, v29, v39
	v_sub_f16_e32 v5, v29, v39
	v_sub_f16_e32 v15, v9, v14
	;; [unrolled: 1-line block ×3, first 2 shown]
	v_pk_add_f16 v0, v0, v29
	v_fma_f16 v17, -0.5, v1, v25
	v_sub_f16_e32 v1, v2, v14
	v_sub_f16_e32 v7, v37, v29
	v_sub_f16_e32 v24, v11, v16
	v_pk_add_f16 v0, v0, v39
	v_add_f16_e64 v29, v167, v16
	s_delay_alu instid0(VALU_DEP_4) | instskip(NEXT) | instid1(VALU_DEP_3)
	v_add_f16_e32 v7, v7, v3
	v_pk_add_f16 v13, v0, v21
	v_add_f16_e32 v0, v8, v4
	v_fma_f16 v8, -0.5, v10, v25
	v_sub_f16_e32 v4, v6, v2
	v_lshrrev_b32_e32 v21, 16, v11
	v_lshrrev_b32_e32 v25, 16, v116
	s_delay_alu instid0(VALU_DEP_3) | instskip(SKIP_1) | instid1(VALU_DEP_2)
	v_fmamk_f16 v10, v4, 0x3b9c, v8
	v_fmac_f16_e32 v8, 0xbb9c, v4
	v_fmac_f16_e32 v10, 0xb8b4, v15
	s_delay_alu instid0(VALU_DEP_2) | instskip(NEXT) | instid1(VALU_DEP_2)
	v_fmac_f16_e32 v8, 0x38b4, v15
	v_fmac_f16_e32 v10, 0x34f2, v0
	s_delay_alu instid0(VALU_DEP_2) | instskip(SKIP_2) | instid1(VALU_DEP_2)
	v_fmac_f16_e32 v8, 0x34f2, v0
	v_add_f16_e32 v0, v6, v2
	v_sub_f16_e32 v2, v14, v2
	v_fma_f16 v19, -0.5, v0, v18
	v_add_f16_e32 v0, v9, v14
	s_delay_alu instid0(VALU_DEP_1) | instskip(SKIP_3) | instid1(VALU_DEP_4)
	v_fmac_f16_e32 v18, -0.5, v0
	v_sub_f16_e32 v0, v6, v9
	v_sub_f16_e32 v6, v9, v6
	v_sub_f16_e32 v9, v28, v25
	v_fmamk_f16 v20, v5, 0xbb9c, v18
	v_fmac_f16_e32 v18, 0x3b9c, v5
	v_add_f16_e32 v0, v0, v1
	v_add_f16_e32 v1, v116, v11
	;; [unrolled: 1-line block ×3, first 2 shown]
	v_fmac_f16_e32 v20, 0x38b4, v12
	v_fmac_f16_e32 v18, 0xb8b4, v12
	s_delay_alu instid0(VALU_DEP_4) | instskip(SKIP_1) | instid1(VALU_DEP_4)
	v_fma_f16 v33, -0.5, v1, v23
	v_add_f16_e32 v1, v25, v21
	v_fmac_f16_e32 v20, 0x34f2, v0
	s_delay_alu instid0(VALU_DEP_4) | instskip(SKIP_1) | instid1(VALU_DEP_1)
	v_fmac_f16_e32 v18, 0x34f2, v0
	v_pk_add_f16 v0, v23, v167
	v_pk_add_f16 v0, v0, v116
	s_delay_alu instid0(VALU_DEP_1) | instskip(SKIP_1) | instid1(VALU_DEP_2)
	v_pk_add_f16 v0, v0, v11
	v_sub_f16_e32 v11, v116, v11
	v_pk_add_f16 v31, v0, v16
	v_lshrrev_b32_e32 v16, 16, v16
	v_add_f16_e32 v0, v27, v24
	v_fma_f16 v24, -0.5, v29, v23
	v_sub_f16_e32 v27, v25, v21
	s_delay_alu instid0(VALU_DEP_4) | instskip(SKIP_2) | instid1(VALU_DEP_4)
	v_sub_f16_e32 v32, v28, v16
	v_sub_f16_e32 v34, v21, v16
	;; [unrolled: 1-line block ×3, first 2 shown]
	v_fmamk_f16 v29, v27, 0x3b9c, v24
	v_fmac_f16_e32 v24, 0xbb9c, v27
	v_fmamk_f16 v3, v32, 0xbb9c, v33
	v_fmac_f16_e32 v33, 0x3b9c, v32
	v_add_f16_e32 v9, v9, v14
	v_fmac_f16_e32 v29, 0xb8b4, v32
	v_fmac_f16_e32 v24, 0x38b4, v32
	v_fmac_f16_e32 v3, 0xb8b4, v27
	v_fmac_f16_e32 v33, 0x38b4, v27
	s_delay_alu instid0(VALU_DEP_4) | instskip(NEXT) | instid1(VALU_DEP_4)
	v_fmac_f16_e32 v29, 0x34f2, v0
	v_fmac_f16_e32 v24, 0x34f2, v0
	v_lshrrev_b32_e32 v0, 16, v23
	s_delay_alu instid0(VALU_DEP_1) | instskip(SKIP_2) | instid1(VALU_DEP_3)
	v_fma_f16 v23, -0.5, v1, v0
	v_add_f16_e32 v1, v28, v16
	v_add_f16_e32 v16, v26, v22
	v_fmamk_f16 v2, v30, 0x3b9c, v23
	s_delay_alu instid0(VALU_DEP_3) | instskip(SKIP_1) | instid1(VALU_DEP_4)
	v_fmac_f16_e32 v0, -0.5, v1
	v_sub_f16_e32 v1, v25, v28
	v_fmac_f16_e32 v3, 0x34f2, v16
	v_fmac_f16_e32 v23, 0xbb9c, v30
	;; [unrolled: 1-line block ×4, first 2 shown]
	v_add_f16_e32 v1, v1, v34
	v_fmamk_f16 v34, v11, 0xbb9c, v0
	v_fmac_f16_e32 v0, 0x3b9c, v11
	v_fmac_f16_e32 v2, 0x34f2, v9
	v_mul_f16_e32 v21, 0x38b4, v3
	v_fmac_f16_e32 v23, 0xb8b4, v11
	v_fmac_f16_e32 v34, 0x38b4, v30
	;; [unrolled: 1-line block ×3, first 2 shown]
	v_mul_f16_e32 v14, 0xb8b4, v2
	v_fmac_f16_e32 v21, 0x3a79, v2
	v_fmac_f16_e32 v23, 0x34f2, v9
	;; [unrolled: 1-line block ×5, first 2 shown]
	v_lshrrev_b32_e32 v16, 16, v124
	v_mul_f16_e32 v9, 0xb8b4, v23
	v_mul_f16_e32 v11, 0xba79, v23
	;; [unrolled: 1-line block ×4, first 2 shown]
	s_delay_alu instid0(VALU_DEP_4) | instskip(NEXT) | instid1(VALU_DEP_4)
	v_fmac_f16_e32 v9, 0xba79, v33
	v_fmac_f16_e32 v11, 0x38b4, v33
	s_delay_alu instid0(VALU_DEP_4) | instskip(NEXT) | instid1(VALU_DEP_4)
	v_fmac_f16_e32 v35, 0xb4f2, v24
	v_fmac_f16_e32 v36, 0x3b9c, v24
	v_mul_f16_e32 v24, 0xbb9c, v34
	v_mul_f16_e32 v34, 0x34f2, v34
	s_delay_alu instid0(VALU_DEP_4) | instskip(NEXT) | instid1(VALU_DEP_4)
	v_add_f16_e32 v0, v8, v35
	v_add_f16_e32 v1, v18, v36
	s_delay_alu instid0(VALU_DEP_4) | instskip(NEXT) | instid1(VALU_DEP_4)
	v_fmac_f16_e32 v24, 0x34f2, v29
	v_fmac_f16_e32 v34, 0x3b9c, v29
	s_delay_alu instid0(VALU_DEP_3) | instskip(NEXT) | instid1(VALU_DEP_3)
	v_pack_b32_f16 v1, v0, v1
	v_add_f16_e32 v0, v10, v24
	s_delay_alu instid0(VALU_DEP_3)
	v_add_f16_e32 v29, v20, v34
	v_sub_f16_e32 v2, v10, v24
	v_sub_f16_e32 v3, v20, v34
	v_fmamk_f16 v10, v15, 0xbb9c, v17
	v_fmamk_f16 v20, v12, 0x3b9c, v19
	v_fmac_f16_e32 v17, 0x3b9c, v15
	v_fmac_f16_e32 v19, 0xbb9c, v12
	v_pack_b32_f16 v3, v2, v3
	v_fmac_f16_e32 v10, 0xb8b4, v4
	v_fmac_f16_e32 v20, 0x38b4, v5
	;; [unrolled: 1-line block ×4, first 2 shown]
	v_pack_b32_f16 v0, v0, v29
	v_fmac_f16_e32 v10, 0x34f2, v7
	v_fmac_f16_e32 v20, 0x34f2, v6
	;; [unrolled: 1-line block ×4, first 2 shown]
	v_pk_add_f16 v7, v13, v31 neg_lo:[0,1] neg_hi:[0,1]
	v_sub_f16_e32 v2, v10, v14
	v_add_f16_e32 v10, v10, v14
	v_add_f16_e32 v4, v20, v21
	v_sub_f16_e32 v22, v20, v21
	v_add_f16_e32 v6, v17, v9
	s_delay_alu instid0(VALU_DEP_3) | instskip(SKIP_3) | instid1(VALU_DEP_3)
	v_pack_b32_f16 v5, v10, v4
	v_add_f16_e32 v10, v19, v11
	v_pk_add_f16 v4, v13, v31
	v_pack_b32_f16 v2, v2, v22
	v_pack_b32_f16 v6, v6, v10
	ds_store_2addr_b64 v193, v[4:5], v[0:1] offset1:1
	ds_store_2addr_b64 v193, v[6:7], v[2:3] offset0:2 offset1:3
	v_sub_f16_e32 v0, v8, v35
	v_sub_f16_e32 v1, v17, v9
	;; [unrolled: 1-line block ×4, first 2 shown]
	v_lshrrev_b32_e32 v4, 16, v121
	s_delay_alu instid0(VALU_DEP_3) | instskip(NEXT) | instid1(VALU_DEP_3)
	v_pack_b32_f16 v1, v1, v2
	v_pack_b32_f16 v0, v0, v3
	ds_store_b64 v193, v[0:1] offset:32
	global_wb scope:SCOPE_SE
	s_wait_dscnt 0x0
	s_barrier_signal -1
	s_barrier_wait -1
	global_inv scope:SCOPE_SE
	ds_load_2addr_b32 v[0:1], v181 offset0:42 offset1:177
	ds_load_2addr_b32 v[5:6], v178 offset0:84 offset1:219
	ds_load_2addr_b32 v[12:13], v170 offset0:62 offset1:197
	ds_load_2addr_b32 v[14:15], v177 offset0:40 offset1:175
	ds_load_2addr_b32 v[24:25], v179 offset0:26 offset1:161
	s_wait_dscnt 0x4
	v_lshrrev_b32_e32 v2, 16, v0
	v_mul_f16_e32 v3, v4, v0
	s_wait_dscnt 0x1
	v_lshrrev_b32_e32 v17, 16, v15
	v_mul_f16_e64 v18, v154, v15
	v_mul_f16_e32 v4, v4, v2
	v_fma_f16 v11, v121, v2, -v3
	v_lshrrev_b32_e32 v3, 16, v122
	v_lshrrev_b32_e32 v2, 16, v5
	s_delay_alu instid0(VALU_DEP_4) | instskip(SKIP_1) | instid1(VALU_DEP_4)
	v_fmac_f16_e32 v4, v121, v0
	v_lshrrev_b32_e32 v0, 16, v1
	v_mul_f16_e32 v7, v3, v5
	s_delay_alu instid0(VALU_DEP_4) | instskip(SKIP_1) | instid1(VALU_DEP_4)
	v_mul_f16_e32 v3, v3, v2
	v_fma_f16 v121, v131, v17, -v18
	v_mul_f16_e64 v193, v162, v0
	s_delay_alu instid0(VALU_DEP_4)
	v_fma_f16 v10, v122, v2, -v7
	v_lshrrev_b32_e32 v7, 16, v12
	v_lshrrev_b32_e32 v2, 16, v123
	v_fmac_f16_e32 v3, v122, v5
	v_fmac_f16_e64 v193, v128, v1
	v_mul_f16_e64 v1, v162, v1
	v_lshrrev_b32_e32 v5, 16, v6
	v_mul_f16_e32 v8, v2, v12
	v_mul_f16_e32 v2, v2, v7
	s_delay_alu instid0(VALU_DEP_3) | instskip(NEXT) | instid1(VALU_DEP_3)
	v_mul_f16_e64 v194, v163, v5
	v_fma_f16 v9, v123, v7, -v8
	v_lshrrev_b32_e32 v7, 16, v14
	s_delay_alu instid0(VALU_DEP_4)
	v_fmac_f16_e32 v2, v123, v12
	v_fma_f16 v12, v128, v0, -v1
	ds_load_2addr_b32 v[0:1], v183 offset0:56 offset1:191
	v_mul_f16_e32 v8, v16, v14
	v_mul_f16_e32 v105, v16, v7
	v_lshrrev_b32_e32 v16, 16, v13
	v_fmac_f16_e64 v194, v129, v6
	v_sub_f16_e32 v34, v3, v2
	v_fma_f16 v8, v124, v7, -v8
	v_fmac_f16_e32 v105, v124, v14
	v_mul_f16_e64 v14, v163, v6
	v_mul_f16_e64 v6, v164, v16
	;; [unrolled: 1-line block ×3, first 2 shown]
	v_sub_f16_e32 v31, v10, v9
	v_sub_f16_e32 v33, v4, v105
	v_fma_f16 v115, v129, v5, -v14
	v_fmac_f16_e64 v6, v130, v13
	v_mul_f16_e64 v13, v164, v13
	v_fmac_f16_e64 v7, v131, v15
	v_sub_f16_e32 v30, v11, v8
	s_delay_alu instid0(VALU_DEP_3) | instskip(SKIP_3) | instid1(VALU_DEP_2)
	v_fma_f16 v116, v130, v16, -v13
	s_wait_dscnt 0x0
	v_lshrrev_b32_e32 v5, 16, v0
	v_mul_f16_e64 v13, v143, v0
	v_mul_f16_e64 v128, v143, v5
	s_delay_alu instid0(VALU_DEP_2)
	v_fma_f16 v143, v144, v5, -v13
	ds_load_2addr_b32 v[13:14], v182 offset0:98 offset1:233
	v_fmac_f16_e64 v128, v144, v0
	v_lshrrev_b32_e32 v0, 16, v1
	s_wait_dscnt 0x0
	v_lshrrev_b32_e32 v5, 16, v13
	v_mul_f16_e32 v15, v126, v13
	s_delay_alu instid0(VALU_DEP_2) | instskip(NEXT) | instid1(VALU_DEP_2)
	v_mul_f16_e64 v129, v126, v5
	v_fma_f16 v122, v145, v5, -v15
	ds_load_2addr_b32 v[15:16], v180 offset0:12 offset1:147
	v_mul_f16_e32 v126, v118, v0
	v_fmac_f16_e64 v129, v145, v13
	v_mul_f16_e32 v13, v119, v14
	s_delay_alu instid0(VALU_DEP_3) | instskip(SKIP_4) | instid1(VALU_DEP_2)
	v_fmac_f16_e32 v126, v92, v1
	v_mul_f16_e32 v1, v118, v1
	s_wait_dscnt 0x0
	v_lshrrev_b32_e32 v5, 16, v15
	v_mul_f16_e64 v17, v161, v15
	v_mul_f16_e64 v130, v161, v5
	s_delay_alu instid0(VALU_DEP_2)
	v_fma_f16 v123, v146, v5, -v17
	ds_load_2addr_b32 v[17:18], v173 offset0:54 offset1:189
	v_fmac_f16_e64 v130, v146, v15
	v_mul_f16_e32 v15, v120, v16
	s_wait_dscnt 0x0
	v_lshrrev_b32_e32 v5, 16, v17
	v_mul_f16_e64 v19, v142, v17
	s_delay_alu instid0(VALU_DEP_2) | instskip(NEXT) | instid1(VALU_DEP_2)
	v_mul_f16_e64 v131, v142, v5
	v_fma_f16 v124, v147, v5, -v19
	v_lshrrev_b32_e32 v5, 16, v14
	s_delay_alu instid0(VALU_DEP_3) | instskip(SKIP_1) | instid1(VALU_DEP_3)
	v_fmac_f16_e64 v131, v147, v17
	v_mul_f16_e32 v17, v117, v18
	v_mul_f16_e32 v106, v119, v5
	v_fma_f16 v119, v93, v5, -v13
	s_delay_alu instid0(VALU_DEP_2) | instskip(SKIP_1) | instid1(VALU_DEP_1)
	v_fmac_f16_e32 v106, v93, v14
	v_lshrrev_b32_e32 v14, 16, v16
	v_mul_f16_e32 v107, v120, v14
	v_fma_f16 v118, v94, v14, -v15
	s_delay_alu instid0(VALU_DEP_2) | instskip(SKIP_1) | instid1(VALU_DEP_1)
	v_fmac_f16_e32 v107, v94, v16
	v_lshrrev_b32_e32 v16, 16, v18
	v_mul_f16_e32 v108, v117, v16
	v_fma_f16 v117, v92, v0, -v1
	ds_load_2addr_b32 v[0:1], v209 offset0:70 offset1:205
	v_fma_f16 v120, v95, v16, -v17
	ds_load_2addr_b32 v[92:93], v165 offset0:68 offset1:203
	v_fmac_f16_e32 v108, v95, v18
	s_wait_dscnt 0x1
	v_lshrrev_b32_e32 v5, 16, v0
	v_mul_f16_e64 v13, v136, v0
	s_wait_dscnt 0x0
	v_lshrrev_b32_e32 v26, 16, v93
	v_mul_f16_e32 v27, v125, v93
	v_mul_f16_e64 v17, v136, v5
	v_fma_f16 v16, v109, v5, -v13
	ds_load_2addr_b32 v[13:14], v148 offset0:112 offset1:247
	v_fmac_f16_e32 v17, v109, v0
	v_lshrrev_b32_e32 v0, 16, v1
	v_fma_f16 v109, v208, v26, -v27
	s_wait_dscnt 0x0
	v_lshrrev_b32_e32 v5, 16, v13
	v_mul_f16_e64 v15, v139, v13
	s_delay_alu instid0(VALU_DEP_2) | instskip(NEXT) | instid1(VALU_DEP_2)
	v_mul_f16_e64 v19, v139, v5
	v_fma_f16 v18, v110, v5, -v15
	v_lshrrev_b32_e32 v5, 16, v24
	v_mul_f16_e64 v15, v140, v24
	s_delay_alu instid0(VALU_DEP_4) | instskip(SKIP_1) | instid1(VALU_DEP_4)
	v_fmac_f16_e32 v19, v110, v13
	v_lshrrev_b32_e32 v13, 16, v14
	v_mul_f16_e64 v21, v140, v5
	s_delay_alu instid0(VALU_DEP_4) | instskip(SKIP_2) | instid1(VALU_DEP_4)
	v_fma_f16 v20, v111, v5, -v15
	v_lshrrev_b32_e32 v5, 16, v92
	v_mul_f16_e64 v15, v141, v92
	v_fmac_f16_e32 v21, v111, v24
	v_lshrrev_b32_e32 v24, 16, v25
	s_delay_alu instid0(VALU_DEP_4) | instskip(NEXT) | instid1(VALU_DEP_4)
	v_mul_f16_e64 v23, v141, v5
	v_fma_f16 v22, v112, v5, -v15
	v_mul_f16_e32 v15, v113, v0
	v_mul_f16_e32 v5, v125, v26
	;; [unrolled: 1-line block ×3, first 2 shown]
	v_fmac_f16_e32 v23, v112, v92
	s_delay_alu instid0(VALU_DEP_4)
	v_fmac_f16_e64 v15, v205, v1
	v_mul_f16_e32 v1, v113, v1
	v_mul_f16_e32 v113, v114, v13
	v_fmac_f16_e64 v111, v207, v25
	v_mul_f16_e32 v25, v127, v25
	v_fmac_f16_e64 v5, v208, v93
	v_fma_f16 v110, v205, v0, -v1
	v_sub_f16_e32 v0, v4, v3
	v_sub_f16_e32 v1, v105, v2
	v_fmac_f16_e64 v113, v206, v14
	v_mul_f16_e32 v14, v114, v14
	s_delay_alu instid0(VALU_DEP_3) | instskip(SKIP_2) | instid1(VALU_DEP_4)
	v_add_f16_e32 v112, v0, v1
	v_sub_f16_e32 v0, v11, v10
	v_sub_f16_e32 v1, v8, v9
	v_fma_f16 v13, v206, v13, -v14
	v_fma_f16 v14, v207, v24, -v25
	s_delay_alu instid0(VALU_DEP_3) | instskip(SKIP_4) | instid1(VALU_DEP_2)
	v_add_f16_e32 v26, v0, v1
	ds_load_2addr_b32 v[0:1], v174 offset1:135
	s_wait_dscnt 0x0
	v_lshrrev_b32_e32 v27, 16, v0
	v_add_f16_e32 v24, v0, v4
	v_add_f16_e32 v25, v27, v11
	s_delay_alu instid0(VALU_DEP_2) | instskip(NEXT) | instid1(VALU_DEP_2)
	v_add_f16_e32 v24, v24, v3
	v_add_f16_e32 v25, v25, v10
	s_delay_alu instid0(VALU_DEP_2) | instskip(NEXT) | instid1(VALU_DEP_2)
	;; [unrolled: 3-line block ×3, first 2 shown]
	v_add_f16_e32 v24, v24, v105
	v_add_f16_e32 v25, v25, v8
	s_delay_alu instid0(VALU_DEP_1)
	v_pack_b32_f16 v28, v24, v25
	v_add_f16_e32 v24, v3, v2
	v_sub_f16_e32 v3, v3, v4
	v_add_f16_e32 v4, v4, v105
	v_sub_f16_e32 v2, v2, v105
	v_add_f16_e32 v25, v10, v9
	v_fma_f16 v29, -0.5, v24, v0
	s_delay_alu instid0(VALU_DEP_4) | instskip(NEXT) | instid1(VALU_DEP_4)
	v_fma_f16 v0, -0.5, v4, v0
	v_add_f16_e32 v2, v3, v2
	v_add_f16_e32 v3, v11, v8
	v_fma_f16 v32, -0.5, v25, v27
	v_sub_f16_e32 v8, v9, v8
	v_fmamk_f16 v4, v31, 0x3b9c, v0
	v_fmac_f16_e32 v0, 0xbb9c, v31
	v_fmac_f16_e32 v27, -0.5, v3
	v_sub_f16_e32 v3, v10, v11
	v_fmamk_f16 v24, v30, 0xbb9c, v29
	v_fmac_f16_e32 v4, 0xb8b4, v30
	v_fmac_f16_e32 v0, 0x38b4, v30
	v_fmamk_f16 v25, v33, 0x3b9c, v32
	v_fmac_f16_e32 v29, 0x3b9c, v30
	v_fmac_f16_e32 v32, 0xbb9c, v33
	;; [unrolled: 1-line block ×4, first 2 shown]
	v_add_f16_e32 v2, v3, v8
	v_fmamk_f16 v3, v34, 0xbb9c, v27
	v_fmac_f16_e32 v27, 0x3b9c, v34
	v_fmac_f16_e32 v24, 0xb8b4, v31
	v_fmac_f16_e32 v25, 0x38b4, v34
	v_fmac_f16_e32 v29, 0x38b4, v31
	v_fmac_f16_e32 v3, 0x38b4, v33
	v_fmac_f16_e32 v27, 0xb8b4, v33
	v_fmac_f16_e32 v32, 0xb8b4, v34
	v_fmac_f16_e32 v24, 0x34f2, v112
	v_fmac_f16_e32 v25, 0x34f2, v26
	v_fmac_f16_e32 v3, 0x34f2, v2
	v_fmac_f16_e32 v27, 0x34f2, v2
	v_fmac_f16_e32 v29, 0x34f2, v112
	v_fmac_f16_e32 v32, 0x34f2, v26
	v_pack_b32_f16 v35, v24, v25
	v_pack_b32_f16 v2, v4, v3
	;; [unrolled: 1-line block ×3, first 2 shown]
	ds_load_2addr_b32 v[24:25], v185 offset0:14 offset1:149
	ds_load_2addr_b32 v[92:93], v153 offset0:28 offset1:163
	global_wb scope:SCOPE_SE
	s_wait_dscnt 0x0
	s_barrier_signal -1
	s_barrier_wait -1
	global_inv scope:SCOPE_SE
	ds_store_2addr_b32 v187, v2, v0 offset0:20 offset1:30
	v_pack_b32_f16 v0, v29, v32
	v_sub_f16_e32 v2, v7, v6
	v_sub_f16_e32 v3, v121, v116
	v_lshrrev_b32_e32 v4, 16, v1
	v_add_f16_e32 v26, v115, v116
	ds_store_b32 v187, v0 offset:160
	v_sub_f16_e64 v0, v193, v194
	v_sub_f16_e32 v9, v12, v121
	v_add_f16_e32 v8, v4, v12
	v_fma_f16 v26, -0.5, v26, v4
	v_sub_f16_e64 v27, v193, v7
	v_add_f16_e32 v0, v0, v2
	v_sub_f16_e32 v2, v12, v115
	v_add_f16_e32 v8, v8, v115
	ds_store_2addr_b32 v187, v28, v35 offset1:10
	v_sub_f16_e32 v11, v115, v116
	v_fmamk_f16 v28, v27, 0x3b9c, v26
	v_add_f16_e32 v2, v2, v3
	v_add_f16_e64 v3, v1, v193
	v_add_f16_e32 v8, v8, v116
	v_sub_f16_e64 v29, v194, v6
	v_fmac_f16_e32 v26, 0xbb9c, v27
	s_delay_alu instid0(VALU_DEP_4) | instskip(NEXT) | instid1(VALU_DEP_4)
	v_add_f16_e64 v3, v3, v194
	v_add_f16_e32 v8, v8, v121
	s_delay_alu instid0(VALU_DEP_4) | instskip(NEXT) | instid1(VALU_DEP_4)
	v_fmac_f16_e32 v28, 0x38b4, v29
	v_fmac_f16_e32 v26, 0xb8b4, v29
	s_delay_alu instid0(VALU_DEP_4) | instskip(NEXT) | instid1(VALU_DEP_3)
	v_add_f16_e32 v3, v3, v6
	v_fmac_f16_e32 v28, 0x34f2, v2
	s_delay_alu instid0(VALU_DEP_3) | instskip(SKIP_1) | instid1(VALU_DEP_4)
	v_fmac_f16_e32 v26, 0x34f2, v2
	v_sub_f16_e32 v2, v124, v123
	v_add_f16_e32 v3, v3, v7
	s_delay_alu instid0(VALU_DEP_1) | instskip(SKIP_2) | instid1(VALU_DEP_2)
	v_pack_b32_f16 v3, v3, v8
	v_add_f16_e64 v8, v194, v6
	v_sub_f16_e32 v6, v6, v7
	v_fma_f16 v8, -0.5, v8, v1
	s_delay_alu instid0(VALU_DEP_1) | instskip(SKIP_1) | instid1(VALU_DEP_2)
	v_fmamk_f16 v10, v9, 0xbb9c, v8
	v_fmac_f16_e32 v8, 0x3b9c, v9
	v_fmac_f16_e32 v10, 0xb8b4, v11
	s_delay_alu instid0(VALU_DEP_2) | instskip(NEXT) | instid1(VALU_DEP_2)
	v_fmac_f16_e32 v8, 0x38b4, v11
	v_fmac_f16_e32 v10, 0x34f2, v0
	s_delay_alu instid0(VALU_DEP_2) | instskip(NEXT) | instid1(VALU_DEP_2)
	v_fmac_f16_e32 v8, 0x34f2, v0
	v_pack_b32_f16 v10, v10, v28
	v_sub_f16_e32 v28, v116, v121
	s_delay_alu instid0(VALU_DEP_3)
	v_pack_b32_f16 v0, v8, v26
	v_sub_f16_e32 v8, v122, v123
	v_sub_f16_e32 v26, v123, v124
	ds_store_2addr_b32 v216, v3, v10 offset1:10
	v_add_f16_e64 v10, v193, v7
	v_sub_f16_e32 v7, v115, v12
	v_add_f16_e32 v12, v12, v121
	v_sub_f16_e64 v3, v194, v193
	ds_store_b32 v216, v0 offset:160
	v_fmac_f16_e32 v1, -0.5, v10
	v_sub_f16_e64 v0, v128, v129
	v_fmac_f16_e32 v4, -0.5, v12
	v_add_f16_e32 v3, v3, v6
	v_add_f16_e32 v6, v7, v28
	v_fmamk_f16 v7, v11, 0x3b9c, v1
	v_fmac_f16_e32 v1, 0xbb9c, v11
	v_fmamk_f16 v10, v29, 0xbb9c, v4
	v_fmac_f16_e32 v4, 0x3b9c, v29
	v_sub_f16_e64 v12, v129, v130
	v_fmac_f16_e32 v7, 0xb8b4, v9
	v_fmac_f16_e32 v1, 0x38b4, v9
	;; [unrolled: 1-line block ×4, first 2 shown]
	v_add_f16_e32 v9, v122, v123
	v_fmac_f16_e32 v7, 0x34f2, v3
	v_fmac_f16_e32 v1, 0x34f2, v3
	;; [unrolled: 1-line block ×4, first 2 shown]
	v_sub_f16_e64 v6, v143, v124
	v_sub_f16_e32 v27, v118, v120
	s_delay_alu instid0(VALU_DEP_4) | instskip(NEXT) | instid1(VALU_DEP_4)
	v_pack_b32_f16 v3, v7, v10
	v_pack_b32_f16 v1, v1, v4
	v_sub_f16_e64 v10, v128, v131
	ds_store_2addr_b32 v216, v3, v1 offset0:20 offset1:30
	v_sub_f16_e64 v1, v131, v130
	v_lshrrev_b32_e32 v3, 16, v24
	s_delay_alu instid0(VALU_DEP_2) | instskip(SKIP_1) | instid1(VALU_DEP_3)
	v_add_f16_e32 v0, v0, v1
	v_sub_f16_e64 v1, v143, v122
	v_add_f16_e64 v4, v3, v143
	v_fma_f16 v9, -0.5, v9, v3
	s_delay_alu instid0(VALU_DEP_3) | instskip(SKIP_1) | instid1(VALU_DEP_4)
	v_add_f16_e32 v1, v1, v2
	v_add_f16_e64 v2, v24, v128
	v_add_f16_e32 v4, v4, v122
	s_delay_alu instid0(VALU_DEP_4) | instskip(SKIP_1) | instid1(VALU_DEP_4)
	v_fmamk_f16 v11, v10, 0x3b9c, v9
	v_fmac_f16_e32 v9, 0xbb9c, v10
	v_add_f16_e64 v2, v2, v129
	s_delay_alu instid0(VALU_DEP_4) | instskip(NEXT) | instid1(VALU_DEP_4)
	v_add_f16_e32 v4, v4, v123
	v_fmac_f16_e32 v11, 0x38b4, v12
	s_delay_alu instid0(VALU_DEP_4) | instskip(NEXT) | instid1(VALU_DEP_4)
	v_fmac_f16_e32 v9, 0xb8b4, v12
	v_add_f16_e64 v2, v2, v130
	s_delay_alu instid0(VALU_DEP_4) | instskip(NEXT) | instid1(VALU_DEP_4)
	v_add_f16_e32 v4, v4, v124
	v_fmac_f16_e32 v11, 0x34f2, v1
	s_delay_alu instid0(VALU_DEP_4) | instskip(SKIP_2) | instid1(VALU_DEP_1)
	v_fmac_f16_e32 v9, 0x34f2, v1
	v_sub_f16_e32 v1, v108, v107
	v_add_f16_e64 v2, v2, v131
	v_pack_b32_f16 v2, v2, v4
	v_add_f16_e64 v4, v129, v130
	s_delay_alu instid0(VALU_DEP_1) | instskip(NEXT) | instid1(VALU_DEP_1)
	v_fma_f16 v4, -0.5, v4, v24
	v_fmamk_f16 v7, v6, 0xbb9c, v4
	v_fmac_f16_e32 v4, 0x3b9c, v6
	s_delay_alu instid0(VALU_DEP_2) | instskip(NEXT) | instid1(VALU_DEP_2)
	v_fmac_f16_e32 v7, 0xb8b4, v8
	v_fmac_f16_e32 v4, 0x38b4, v8
	s_delay_alu instid0(VALU_DEP_2) | instskip(NEXT) | instid1(VALU_DEP_2)
	v_fmac_f16_e32 v7, 0x34f2, v0
	v_fmac_f16_e32 v4, 0x34f2, v0
	s_delay_alu instid0(VALU_DEP_2) | instskip(SKIP_1) | instid1(VALU_DEP_3)
	v_pack_b32_f16 v7, v7, v11
	v_add_f16_e64 v11, v128, v131
	v_pack_b32_f16 v0, v4, v9
	v_add_f16_e32 v9, v119, v118
	ds_store_2addr_b32 v220, v2, v7 offset1:10
	v_sub_f16_e64 v2, v129, v128
	v_sub_f16_e64 v7, v130, v131
	v_fma_f16 v11, -0.5, v11, v24
	ds_store_b32 v220, v0 offset:160
	v_sub_f16_e32 v0, v126, v106
	v_add_f16_e32 v2, v2, v7
	v_add_f16_e64 v7, v143, v124
	v_fmamk_f16 v24, v8, 0x3b9c, v11
	v_fmac_f16_e32 v11, 0xbb9c, v8
	v_add_f16_e32 v0, v0, v1
	v_sub_f16_e32 v1, v117, v119
	v_fmac_f16_e32 v3, -0.5, v7
	v_sub_f16_e64 v7, v122, v143
	v_fmac_f16_e32 v24, 0xb8b4, v6
	v_fmac_f16_e32 v11, 0x38b4, v6
	v_sub_f16_e32 v6, v117, v120
	v_sub_f16_e32 v8, v119, v118
	s_delay_alu instid0(VALU_DEP_4) | instskip(NEXT) | instid1(VALU_DEP_4)
	v_fmac_f16_e32 v24, 0x34f2, v2
	v_fmac_f16_e32 v11, 0x34f2, v2
	v_add_f16_e32 v2, v7, v26
	v_fmamk_f16 v7, v12, 0xbb9c, v3
	v_fmac_f16_e32 v3, 0x3b9c, v12
	v_sub_f16_e32 v12, v106, v107
	v_add_f16_e32 v26, v117, v120
	s_delay_alu instid0(VALU_DEP_4) | instskip(NEXT) | instid1(VALU_DEP_4)
	v_fmac_f16_e32 v7, 0x38b4, v10
	v_fmac_f16_e32 v3, 0xb8b4, v10
	v_sub_f16_e32 v10, v126, v108
	s_delay_alu instid0(VALU_DEP_3) | instskip(NEXT) | instid1(VALU_DEP_3)
	v_fmac_f16_e32 v7, 0x34f2, v2
	v_fmac_f16_e32 v3, 0x34f2, v2
	s_delay_alu instid0(VALU_DEP_2) | instskip(NEXT) | instid1(VALU_DEP_2)
	v_pack_b32_f16 v2, v24, v7
	v_pack_b32_f16 v3, v11, v3
	v_sub_f16_e32 v24, v119, v117
	ds_store_2addr_b32 v220, v2, v3 offset0:20 offset1:30
	v_sub_f16_e32 v2, v120, v118
	v_lshrrev_b32_e32 v3, 16, v25
	s_delay_alu instid0(VALU_DEP_2) | instskip(SKIP_1) | instid1(VALU_DEP_3)
	v_add_f16_e32 v1, v1, v2
	v_add_f16_e32 v2, v25, v126
	;; [unrolled: 1-line block ×3, first 2 shown]
	v_fma_f16 v9, -0.5, v9, v3
	v_fmac_f16_e32 v3, -0.5, v26
	s_delay_alu instid0(VALU_DEP_4) | instskip(NEXT) | instid1(VALU_DEP_4)
	v_add_f16_e32 v2, v2, v106
	v_add_f16_e32 v4, v4, v119
	s_delay_alu instid0(VALU_DEP_4) | instskip(SKIP_1) | instid1(VALU_DEP_4)
	v_fmamk_f16 v11, v10, 0x3b9c, v9
	v_fmac_f16_e32 v9, 0xbb9c, v10
	v_add_f16_e32 v2, v2, v107
	s_delay_alu instid0(VALU_DEP_4) | instskip(NEXT) | instid1(VALU_DEP_4)
	v_add_f16_e32 v4, v4, v118
	v_fmac_f16_e32 v11, 0x38b4, v12
	s_delay_alu instid0(VALU_DEP_4) | instskip(NEXT) | instid1(VALU_DEP_4)
	v_fmac_f16_e32 v9, 0xb8b4, v12
	v_add_f16_e32 v2, v2, v108
	s_delay_alu instid0(VALU_DEP_4) | instskip(NEXT) | instid1(VALU_DEP_4)
	v_add_f16_e32 v4, v4, v120
	v_fmac_f16_e32 v11, 0x34f2, v1
	s_delay_alu instid0(VALU_DEP_4) | instskip(SKIP_1) | instid1(VALU_DEP_4)
	v_fmac_f16_e32 v9, 0x34f2, v1
	v_sub_f16_e32 v1, v23, v21
	v_pack_b32_f16 v2, v2, v4
	v_add_f16_e32 v4, v106, v107
	s_delay_alu instid0(VALU_DEP_1) | instskip(NEXT) | instid1(VALU_DEP_1)
	v_fma_f16 v4, -0.5, v4, v25
	v_fmamk_f16 v7, v6, 0xbb9c, v4
	v_fmac_f16_e32 v4, 0x3b9c, v6
	s_delay_alu instid0(VALU_DEP_2) | instskip(NEXT) | instid1(VALU_DEP_2)
	v_fmac_f16_e32 v7, 0xb8b4, v8
	v_fmac_f16_e32 v4, 0x38b4, v8
	s_delay_alu instid0(VALU_DEP_2) | instskip(NEXT) | instid1(VALU_DEP_2)
	v_fmac_f16_e32 v7, 0x34f2, v0
	v_fmac_f16_e32 v4, 0x34f2, v0
	s_delay_alu instid0(VALU_DEP_2) | instskip(SKIP_1) | instid1(VALU_DEP_3)
	v_pack_b32_f16 v7, v7, v11
	v_sub_f16_e32 v11, v107, v108
	v_pack_b32_f16 v0, v4, v9
	v_add_f16_e32 v9, v18, v20
	ds_store_2addr_b32 v222, v2, v7 offset1:10
	v_add_f16_e32 v7, v126, v108
	v_sub_f16_e32 v2, v106, v126
	ds_store_b32 v222, v0 offset:160
	v_sub_f16_e32 v0, v17, v19
	v_fmac_f16_e32 v25, -0.5, v7
	v_add_f16_e32 v2, v2, v11
	v_add_f16_e32 v7, v24, v27
	v_fmamk_f16 v24, v12, 0xbb9c, v3
	v_fmac_f16_e32 v3, 0x3b9c, v12
	v_fmamk_f16 v11, v8, 0x3b9c, v25
	v_fmac_f16_e32 v25, 0xbb9c, v8
	v_add_f16_e32 v0, v0, v1
	v_fmac_f16_e32 v24, 0x38b4, v10
	v_fmac_f16_e32 v3, 0xb8b4, v10
	;; [unrolled: 1-line block ×4, first 2 shown]
	v_sub_f16_e32 v1, v16, v18
	v_fmac_f16_e32 v24, 0x34f2, v7
	v_fmac_f16_e32 v3, 0x34f2, v7
	;; [unrolled: 1-line block ×4, first 2 shown]
	v_sub_f16_e32 v6, v16, v22
	v_sub_f16_e32 v10, v17, v23
	;; [unrolled: 1-line block ×3, first 2 shown]
	v_pack_b32_f16 v2, v11, v24
	v_pack_b32_f16 v3, v25, v3
	v_sub_f16_e32 v12, v19, v21
	v_lshrrev_b32_e32 v24, 16, v58
	ds_store_2addr_b32 v222, v2, v3 offset0:20 offset1:30
	v_sub_f16_e32 v2, v22, v20
	v_lshrrev_b32_e32 v3, 16, v92
	s_delay_alu instid0(VALU_DEP_2) | instskip(SKIP_1) | instid1(VALU_DEP_3)
	v_add_f16_e32 v1, v1, v2
	v_add_f16_e32 v2, v92, v17
	;; [unrolled: 1-line block ×3, first 2 shown]
	v_fma_f16 v9, -0.5, v9, v3
	s_delay_alu instid0(VALU_DEP_3) | instskip(NEXT) | instid1(VALU_DEP_3)
	v_add_f16_e32 v2, v2, v19
	v_add_f16_e32 v4, v4, v18
	s_delay_alu instid0(VALU_DEP_3) | instskip(SKIP_1) | instid1(VALU_DEP_4)
	v_fmamk_f16 v11, v10, 0x3b9c, v9
	v_fmac_f16_e32 v9, 0xbb9c, v10
	v_add_f16_e32 v2, v2, v21
	s_delay_alu instid0(VALU_DEP_4) | instskip(NEXT) | instid1(VALU_DEP_4)
	v_add_f16_e32 v4, v4, v20
	v_fmac_f16_e32 v11, 0x38b4, v12
	s_delay_alu instid0(VALU_DEP_4) | instskip(NEXT) | instid1(VALU_DEP_4)
	v_fmac_f16_e32 v9, 0xb8b4, v12
	v_add_f16_e32 v2, v2, v23
	s_delay_alu instid0(VALU_DEP_4) | instskip(NEXT) | instid1(VALU_DEP_4)
	v_add_f16_e32 v4, v4, v22
	v_fmac_f16_e32 v11, 0x34f2, v1
	s_delay_alu instid0(VALU_DEP_4) | instskip(SKIP_1) | instid1(VALU_DEP_4)
	v_fmac_f16_e32 v9, 0x34f2, v1
	v_sub_f16_e32 v1, v5, v111
	v_pack_b32_f16 v2, v2, v4
	v_add_f16_e32 v4, v19, v21
	s_delay_alu instid0(VALU_DEP_1) | instskip(NEXT) | instid1(VALU_DEP_1)
	v_fma_f16 v4, -0.5, v4, v92
	v_fmamk_f16 v7, v6, 0xbb9c, v4
	v_fmac_f16_e32 v4, 0x3b9c, v6
	s_delay_alu instid0(VALU_DEP_2) | instskip(NEXT) | instid1(VALU_DEP_2)
	v_fmac_f16_e32 v7, 0xb8b4, v8
	v_fmac_f16_e32 v4, 0x38b4, v8
	s_delay_alu instid0(VALU_DEP_2) | instskip(NEXT) | instid1(VALU_DEP_2)
	v_fmac_f16_e32 v7, 0x34f2, v0
	v_fmac_f16_e32 v4, 0x34f2, v0
	s_delay_alu instid0(VALU_DEP_2) | instskip(SKIP_1) | instid1(VALU_DEP_3)
	v_pack_b32_f16 v7, v7, v11
	v_add_f16_e32 v11, v17, v23
	v_pack_b32_f16 v0, v4, v9
	v_add_f16_e32 v9, v13, v14
	ds_store_2addr_b32 v225, v2, v7 offset1:10
	v_sub_f16_e32 v2, v19, v17
	v_sub_f16_e32 v7, v21, v23
	v_fma_f16 v11, -0.5, v11, v92
	ds_store_b32 v225, v0 offset:160
	v_sub_f16_e32 v0, v15, v113
	v_add_f16_e32 v2, v2, v7
	v_add_f16_e32 v7, v16, v22
	v_fmamk_f16 v17, v8, 0x3b9c, v11
	v_fmac_f16_e32 v11, 0xbb9c, v8
	v_add_f16_e32 v0, v0, v1
	v_sub_f16_e32 v1, v110, v13
	v_fmac_f16_e32 v3, -0.5, v7
	v_sub_f16_e32 v7, v18, v16
	v_sub_f16_e32 v16, v20, v22
	v_fmac_f16_e32 v17, 0xb8b4, v6
	v_fmac_f16_e32 v11, 0x38b4, v6
	v_sub_f16_e32 v6, v110, v109
	v_sub_f16_e32 v8, v13, v14
	s_delay_alu instid0(VALU_DEP_4) | instskip(NEXT) | instid1(VALU_DEP_4)
	v_fmac_f16_e32 v17, 0x34f2, v2
	v_fmac_f16_e32 v11, 0x34f2, v2
	v_add_f16_e32 v2, v7, v16
	v_fmamk_f16 v7, v12, 0xbb9c, v3
	v_fmac_f16_e32 v3, 0x3b9c, v12
	v_sub_f16_e32 v12, v113, v111
	v_lshrrev_b32_e32 v16, 16, v52
	s_delay_alu instid0(VALU_DEP_4) | instskip(NEXT) | instid1(VALU_DEP_4)
	v_fmac_f16_e32 v7, 0x38b4, v10
	v_fmac_f16_e32 v3, 0xb8b4, v10
	v_sub_f16_e32 v10, v15, v5
	s_delay_alu instid0(VALU_DEP_3) | instskip(NEXT) | instid1(VALU_DEP_3)
	v_fmac_f16_e32 v7, 0x34f2, v2
	v_fmac_f16_e32 v3, 0x34f2, v2
	s_delay_alu instid0(VALU_DEP_2) | instskip(NEXT) | instid1(VALU_DEP_2)
	v_pack_b32_f16 v2, v17, v7
	v_pack_b32_f16 v3, v11, v3
	ds_store_2addr_b32 v225, v2, v3 offset0:20 offset1:30
	v_sub_f16_e32 v2, v109, v14
	v_lshrrev_b32_e32 v3, 16, v93
	s_delay_alu instid0(VALU_DEP_2) | instskip(SKIP_1) | instid1(VALU_DEP_3)
	v_add_f16_e32 v1, v1, v2
	v_add_f16_e32 v2, v93, v15
	v_add_f16_e32 v4, v3, v110
	v_fma_f16 v9, -0.5, v9, v3
	s_delay_alu instid0(VALU_DEP_3) | instskip(NEXT) | instid1(VALU_DEP_3)
	v_add_f16_e32 v2, v2, v113
	v_add_f16_e32 v4, v4, v13
	s_delay_alu instid0(VALU_DEP_3) | instskip(SKIP_1) | instid1(VALU_DEP_4)
	v_fmamk_f16 v11, v10, 0x3b9c, v9
	v_fmac_f16_e32 v9, 0xbb9c, v10
	v_add_f16_e32 v2, v2, v111
	s_delay_alu instid0(VALU_DEP_4) | instskip(NEXT) | instid1(VALU_DEP_4)
	v_add_f16_e32 v4, v4, v14
	v_fmac_f16_e32 v11, 0x38b4, v12
	v_sub_f16_e32 v14, v14, v109
	v_fmac_f16_e32 v9, 0xb8b4, v12
	v_add_f16_e32 v2, v2, v5
	v_add_f16_e32 v4, v4, v109
	v_fmac_f16_e32 v11, 0x34f2, v1
	s_delay_alu instid0(VALU_DEP_4) | instskip(NEXT) | instid1(VALU_DEP_3)
	v_fmac_f16_e32 v9, 0x34f2, v1
	v_pack_b32_f16 v2, v2, v4
	v_add_f16_e32 v4, v113, v111
	s_delay_alu instid0(VALU_DEP_1) | instskip(NEXT) | instid1(VALU_DEP_1)
	v_fma_f16 v4, -0.5, v4, v93
	v_fmamk_f16 v7, v6, 0xbb9c, v4
	v_fmac_f16_e32 v4, 0x3b9c, v6
	s_delay_alu instid0(VALU_DEP_2) | instskip(NEXT) | instid1(VALU_DEP_2)
	v_fmac_f16_e32 v7, 0xb8b4, v8
	v_fmac_f16_e32 v4, 0x38b4, v8
	s_delay_alu instid0(VALU_DEP_2) | instskip(NEXT) | instid1(VALU_DEP_2)
	v_fmac_f16_e32 v7, 0x34f2, v0
	v_fmac_f16_e32 v4, 0x34f2, v0
	s_delay_alu instid0(VALU_DEP_2) | instskip(SKIP_2) | instid1(VALU_DEP_4)
	v_pack_b32_f16 v7, v7, v11
	v_sub_f16_e32 v11, v13, v110
	v_add_f16_e32 v13, v110, v109
	v_pack_b32_f16 v0, v4, v9
	v_lshrrev_b32_e32 v4, 16, v61
	ds_store_2addr_b32 v230, v2, v7 offset1:10
	v_add_f16_e32 v7, v15, v5
	v_sub_f16_e32 v2, v113, v15
	v_sub_f16_e32 v5, v111, v5
	v_fmac_f16_e32 v3, -0.5, v13
	ds_store_b32 v230, v0 offset:160
	v_fmac_f16_e32 v93, -0.5, v7
	v_add_f16_e32 v2, v2, v5
	v_add_f16_e32 v5, v11, v14
	v_fmamk_f16 v11, v12, 0xbb9c, v3
	s_delay_alu instid0(VALU_DEP_4)
	v_fmamk_f16 v7, v8, 0x3b9c, v93
	v_fmac_f16_e32 v93, 0xbb9c, v8
	v_fmac_f16_e32 v3, 0x3b9c, v12
	v_lshrrev_b32_e32 v8, 16, v62
	v_fmac_f16_e32 v11, 0x38b4, v10
	v_fmac_f16_e32 v7, 0xb8b4, v6
	;; [unrolled: 1-line block ×4, first 2 shown]
	s_delay_alu instid0(VALU_DEP_4) | instskip(NEXT) | instid1(VALU_DEP_4)
	v_fmac_f16_e32 v11, 0x34f2, v5
	v_fmac_f16_e32 v7, 0x34f2, v2
	s_delay_alu instid0(VALU_DEP_4) | instskip(NEXT) | instid1(VALU_DEP_4)
	v_fmac_f16_e32 v93, 0x34f2, v2
	v_fmac_f16_e32 v3, 0x34f2, v5
	s_delay_alu instid0(VALU_DEP_3) | instskip(NEXT) | instid1(VALU_DEP_2)
	v_pack_b32_f16 v2, v7, v11
	v_pack_b32_f16 v3, v93, v3
	ds_store_2addr_b32 v230, v2, v3 offset0:20 offset1:30
	global_wb scope:SCOPE_SE
	s_wait_dscnt 0x0
	s_barrier_signal -1
	s_barrier_wait -1
	global_inv scope:SCOPE_SE
	ds_load_2addr_b32 v[0:1], v209 offset0:70 offset1:205
	s_wait_dscnt 0x0
	v_lshrrev_b32_e32 v2, 16, v0
	v_mul_f16_e32 v3, v4, v0
	s_delay_alu instid0(VALU_DEP_2) | instskip(NEXT) | instid1(VALU_DEP_2)
	v_mul_f16_e32 v4, v4, v2
	v_fma_f16 v5, v61, v2, -v3
	ds_load_2addr_b32 v[2:3], v180 offset0:12 offset1:147
	v_fmac_f16_e32 v4, v61, v0
	v_lshrrev_b32_e32 v0, 16, v1
	s_wait_dscnt 0x0
	v_lshrrev_b32_e32 v6, 16, v2
	v_mul_f16_e32 v7, v8, v2
	s_delay_alu instid0(VALU_DEP_2) | instskip(NEXT) | instid1(VALU_DEP_2)
	v_mul_f16_e32 v8, v8, v6
	v_fma_f16 v6, v62, v6, -v7
	v_lshrrev_b32_e32 v7, 16, v56
	s_delay_alu instid0(VALU_DEP_3) | instskip(SKIP_1) | instid1(VALU_DEP_4)
	v_fmac_f16_e32 v8, v62, v2
	v_lshrrev_b32_e32 v2, 16, v55
	v_sub_f16_e32 v47, v5, v6
	s_delay_alu instid0(VALU_DEP_3) | instskip(NEXT) | instid1(VALU_DEP_3)
	v_sub_f16_e32 v48, v4, v8
	v_mul_f16_e32 v10, v2, v0
	s_delay_alu instid0(VALU_DEP_1) | instskip(SKIP_2) | instid1(VALU_DEP_2)
	v_fmac_f16_e32 v10, v55, v1
	v_mul_f16_e32 v1, v2, v1
	v_lshrrev_b32_e32 v2, 16, v3
	v_fma_f16 v12, v55, v0, -v1
	ds_load_2addr_b32 v[0:1], v178 offset0:84 offset1:219
	v_mul_f16_e32 v11, v7, v2
	v_mul_f16_e32 v7, v7, v3
	s_delay_alu instid0(VALU_DEP_2) | instskip(NEXT) | instid1(VALU_DEP_2)
	v_fmac_f16_e32 v11, v56, v3
	v_fma_f16 v13, v56, v2, -v7
	v_lshrrev_b32_e32 v7, 16, v51
	s_wait_dscnt 0x0
	v_lshrrev_b32_e32 v2, 16, v0
	s_delay_alu instid0(VALU_DEP_2) | instskip(NEXT) | instid1(VALU_DEP_2)
	v_mul_f16_e32 v3, v7, v0
	v_mul_f16_e32 v14, v7, v2
	s_delay_alu instid0(VALU_DEP_2)
	v_fma_f16 v15, v51, v2, -v3
	ds_load_2addr_b32 v[2:3], v179 offset0:26 offset1:161
	v_fmac_f16_e32 v14, v51, v0
	v_lshrrev_b32_e32 v0, 16, v1
	s_wait_dscnt 0x0
	v_lshrrev_b32_e32 v7, 16, v2
	v_mul_f16_e32 v9, v16, v2
	s_delay_alu instid0(VALU_DEP_2) | instskip(NEXT) | instid1(VALU_DEP_2)
	v_mul_f16_e32 v16, v16, v7
	v_fma_f16 v17, v52, v7, -v9
	v_lshrrev_b32_e32 v7, 16, v233
	s_delay_alu instid0(VALU_DEP_3) | instskip(SKIP_1) | instid1(VALU_DEP_1)
	v_fmac_f16_e32 v16, v52, v2
	v_lshrrev_b32_e32 v2, 16, v232
	v_mul_f16_e32 v18, v2, v0
	s_delay_alu instid0(VALU_DEP_1) | instskip(SKIP_2) | instid1(VALU_DEP_2)
	v_fmac_f16_e64 v18, v232, v1
	v_mul_f16_e32 v1, v2, v1
	v_lshrrev_b32_e32 v2, 16, v3
	v_fma_f16 v20, v232, v0, -v1
	ds_load_2addr_b32 v[0:1], v182 offset0:98 offset1:233
	v_mul_f16_e32 v19, v7, v2
	v_mul_f16_e32 v7, v7, v3
	s_delay_alu instid0(VALU_DEP_2) | instskip(NEXT) | instid1(VALU_DEP_2)
	v_fmac_f16_e64 v19, v233, v3
	v_fma_f16 v21, v233, v2, -v7
	v_lshrrev_b32_e32 v7, 16, v57
	s_wait_dscnt 0x0
	v_lshrrev_b32_e32 v2, 16, v0
	s_delay_alu instid0(VALU_DEP_2) | instskip(NEXT) | instid1(VALU_DEP_2)
	v_mul_f16_e32 v3, v7, v0
	v_mul_f16_e32 v22, v7, v2
	s_delay_alu instid0(VALU_DEP_2)
	v_fma_f16 v23, v57, v2, -v3
	ds_load_2addr_b32 v[2:3], v177 offset0:40 offset1:175
	v_fmac_f16_e32 v22, v57, v0
	v_lshrrev_b32_e32 v0, 16, v1
	s_wait_dscnt 0x0
	v_lshrrev_b32_e32 v7, 16, v2
	v_mul_f16_e32 v9, v24, v2
	s_delay_alu instid0(VALU_DEP_2) | instskip(NEXT) | instid1(VALU_DEP_2)
	v_mul_f16_e32 v24, v24, v7
	v_fma_f16 v25, v58, v7, -v9
	v_lshrrev_b32_e32 v7, 16, v66
	s_delay_alu instid0(VALU_DEP_3) | instskip(SKIP_1) | instid1(VALU_DEP_1)
	v_fmac_f16_e32 v24, v58, v2
	v_lshrrev_b32_e32 v2, 16, v65
	v_mul_f16_e32 v26, v2, v0
	s_delay_alu instid0(VALU_DEP_1) | instskip(SKIP_2) | instid1(VALU_DEP_2)
	v_fmac_f16_e32 v26, v65, v1
	v_mul_f16_e32 v1, v2, v1
	v_lshrrev_b32_e32 v2, 16, v3
	v_fma_f16 v28, v65, v0, -v1
	ds_load_2addr_b32 v[0:1], v148 offset0:112 offset1:247
	v_mul_f16_e32 v27, v7, v2
	v_mul_f16_e32 v7, v7, v3
	s_delay_alu instid0(VALU_DEP_2) | instskip(NEXT) | instid1(VALU_DEP_2)
	v_fmac_f16_e32 v27, v66, v3
	v_fma_f16 v29, v66, v2, -v7
	s_wait_dscnt 0x0
	v_lshrrev_b32_e32 v2, 16, v0
	v_mul_f16_e64 v3, v250, v0
	s_delay_alu instid0(VALU_DEP_2) | instskip(NEXT) | instid1(VALU_DEP_2)
	v_mul_f16_e64 v30, v250, v2
	v_fma_f16 v31, v63, v2, -v3
	ds_load_2addr_b32 v[2:3], v173 offset0:54 offset1:189
	v_fmac_f16_e32 v30, v63, v0
	v_lshrrev_b32_e32 v0, 16, v1
	s_delay_alu instid0(VALU_DEP_1) | instskip(NEXT) | instid1(VALU_DEP_1)
	v_mul_f16_e64 v34, v219, v0
	v_fmac_f16_e32 v34, v59, v1
	v_mul_f16_e64 v1, v219, v1
	s_wait_dscnt 0x0
	v_lshrrev_b32_e32 v7, 16, v2
	s_delay_alu instid0(VALU_DEP_2) | instskip(SKIP_3) | instid1(VALU_DEP_2)
	v_fma_f16 v36, v59, v0, -v1
	ds_load_2addr_b32 v[0:1], v170 offset0:62 offset1:197
	v_mul_f16_e64 v9, v253, v2
	v_mul_f16_e64 v32, v253, v7
	v_fma_f16 v33, v64, v7, -v9
	v_mul_f16_e64 v7, v221, v3
	s_delay_alu instid0(VALU_DEP_3) | instskip(SKIP_1) | instid1(VALU_DEP_1)
	v_fmac_f16_e32 v32, v64, v2
	v_lshrrev_b32_e32 v2, 16, v3
	v_mul_f16_e64 v35, v221, v2
	s_delay_alu instid0(VALU_DEP_4) | instskip(NEXT) | instid1(VALU_DEP_2)
	v_fma_f16 v37, v60, v2, -v7
	v_fmac_f16_e32 v35, v60, v3
	s_wait_dscnt 0x0
	v_lshrrev_b32_e32 v2, 16, v0
	v_mul_f16_e64 v3, v195, v0
	s_delay_alu instid0(VALU_DEP_2) | instskip(NEXT) | instid1(VALU_DEP_2)
	v_mul_f16_e64 v38, v195, v2
	v_fma_f16 v39, v53, v2, -v3
	ds_load_2addr_b32 v[2:3], v165 offset0:68 offset1:203
	v_fmac_f16_e32 v38, v53, v0
	v_lshrrev_b32_e32 v0, 16, v1
	s_delay_alu instid0(VALU_DEP_1) | instskip(NEXT) | instid1(VALU_DEP_1)
	v_mul_f16_e64 v42, v217, v0
	v_fmac_f16_e64 v42, v234, v1
	v_mul_f16_e64 v1, v217, v1
	s_wait_dscnt 0x0
	v_lshrrev_b32_e32 v7, 16, v2
	s_delay_alu instid0(VALU_DEP_2) | instskip(SKIP_3) | instid1(VALU_DEP_2)
	v_fma_f16 v44, v234, v0, -v1
	ds_load_2addr_b32 v[0:1], v174 offset1:135
	v_mul_f16_e64 v9, v210, v2
	v_mul_f16_e64 v40, v210, v7
	v_fma_f16 v41, v54, v7, -v9
	v_mul_f16_e64 v7, v191, v3
	s_delay_alu instid0(VALU_DEP_3) | instskip(SKIP_1) | instid1(VALU_DEP_1)
	v_fmac_f16_e32 v40, v54, v2
	v_lshrrev_b32_e32 v2, 16, v3
	v_mul_f16_e64 v43, v191, v2
	s_delay_alu instid0(VALU_DEP_4) | instskip(NEXT) | instid1(VALU_DEP_2)
	v_fma_f16 v45, v235, v2, -v7
	v_fmac_f16_e64 v43, v235, v3
	s_wait_dscnt 0x0
	v_lshrrev_b32_e32 v46, 16, v0
	v_add_f16_e32 v3, v5, v6
	s_delay_alu instid0(VALU_DEP_2) | instskip(NEXT) | instid1(VALU_DEP_2)
	v_add_f16_e32 v2, v46, v5
	v_fmac_f16_e32 v46, -0.5, v3
	v_add_f16_e32 v3, v0, v4
	v_add_f16_e32 v5, v4, v8
	s_delay_alu instid0(VALU_DEP_4) | instskip(NEXT) | instid1(VALU_DEP_3)
	v_add_f16_e32 v2, v2, v6
	v_add_f16_e32 v3, v3, v8
	s_delay_alu instid0(VALU_DEP_3) | instskip(NEXT) | instid1(VALU_DEP_2)
	v_fma_f16 v0, -0.5, v5, v0
	v_pack_b32_f16 v49, v3, v2
	s_delay_alu instid0(VALU_DEP_2) | instskip(SKIP_4) | instid1(VALU_DEP_4)
	v_fmamk_f16 v2, v47, 0xbaee, v0
	v_fmamk_f16 v3, v48, 0x3aee, v46
	v_fmac_f16_e32 v0, 0x3aee, v47
	v_fmac_f16_e32 v46, 0xbaee, v48
	v_add_f16_e32 v47, v1, v10
	v_pack_b32_f16 v50, v2, v3
	ds_load_2addr_b32 v[2:3], v185 offset0:14 offset1:149
	ds_load_2addr_b32 v[4:5], v153 offset0:28 offset1:163
	;; [unrolled: 1-line block ×4, first 2 shown]
	global_wb scope:SCOPE_SE
	s_wait_dscnt 0x0
	s_barrier_signal -1
	s_barrier_wait -1
	global_inv scope:SCOPE_SE
	scratch_load_b32 v51, off, off offset:292 th:TH_LOAD_LU ; 4-byte Folded Reload
	v_pack_b32_f16 v0, v0, v46
	v_lshrrev_b32_e32 v46, 16, v1
	s_wait_loadcnt 0x0
	ds_store_b32 v51, v0 offset:400
	v_add_f16_e32 v0, v10, v11
	ds_store_2addr_b32 v51, v49, v50 offset1:50
	v_fmac_f16_e32 v1, -0.5, v0
	v_sub_f16_e32 v0, v12, v13
	s_delay_alu instid0(VALU_DEP_1) | instskip(SKIP_3) | instid1(VALU_DEP_2)
	v_fmamk_f16 v48, v0, 0xbaee, v1
	v_fmac_f16_e32 v1, 0x3aee, v0
	v_add_f16_e32 v0, v12, v13
	v_add_f16_e32 v12, v46, v12
	v_fmac_f16_e32 v46, -0.5, v0
	v_sub_f16_e32 v0, v10, v11
	s_delay_alu instid0(VALU_DEP_1) | instskip(SKIP_1) | instid1(VALU_DEP_2)
	v_fmamk_f16 v10, v0, 0x3aee, v46
	v_fmac_f16_e32 v46, 0xbaee, v0
	v_pack_b32_f16 v10, v48, v10
	s_delay_alu instid0(VALU_DEP_2) | instskip(SKIP_4) | instid1(VALU_DEP_3)
	v_pack_b32_f16 v0, v1, v46
	v_add_f16_e32 v1, v47, v11
	v_add_f16_e32 v11, v12, v13
	;; [unrolled: 1-line block ×3, first 2 shown]
	v_sub_f16_e32 v13, v14, v16
	v_pack_b32_f16 v1, v1, v11
	scratch_load_b32 v11, off, off offset:296 th:TH_LOAD_LU ; 4-byte Folded Reload
	s_wait_loadcnt 0x0
	ds_store_2addr_b32 v11, v1, v10 offset1:50
	ds_store_b32 v11, v0 offset:400
	v_lshrrev_b32_e32 v0, 16, v2
	v_add_f16_e32 v10, v15, v17
	v_sub_f16_e32 v11, v15, v17
	s_delay_alu instid0(VALU_DEP_3) | instskip(NEXT) | instid1(VALU_DEP_3)
	v_add_f16_e32 v1, v0, v15
	v_fmac_f16_e32 v0, -0.5, v10
	v_add_f16_e32 v10, v2, v14
	v_fma_f16 v2, -0.5, v12, v2
	s_delay_alu instid0(VALU_DEP_4) | instskip(NEXT) | instid1(VALU_DEP_4)
	v_add_f16_e32 v1, v1, v17
	v_fmamk_f16 v12, v13, 0x3aee, v0
	s_delay_alu instid0(VALU_DEP_4) | instskip(SKIP_2) | instid1(VALU_DEP_3)
	v_add_f16_e32 v10, v10, v16
	v_fmac_f16_e32 v0, 0xbaee, v13
	v_lshrrev_b32_e32 v16, 16, v249
	v_pack_b32_f16 v1, v10, v1
	v_fmamk_f16 v10, v11, 0xbaee, v2
	v_fmac_f16_e32 v2, 0x3aee, v11
	s_delay_alu instid0(VALU_DEP_2)
	v_pack_b32_f16 v10, v10, v12
	scratch_load_b32 v12, off, off offset:300 th:TH_LOAD_LU ; 4-byte Folded Reload
	v_pack_b32_f16 v0, v2, v0
	v_add_f16_e32 v2, v3, v18
	s_wait_loadcnt 0x0
	ds_store_b32 v12, v0 offset:400
	v_add_f16_e32 v0, v18, v19
	ds_store_2addr_b32 v12, v1, v10 offset1:50
	v_lshrrev_b32_e32 v1, 16, v3
	v_fmac_f16_e32 v3, -0.5, v0
	v_sub_f16_e32 v0, v20, v21
	s_delay_alu instid0(VALU_DEP_3) | instskip(NEXT) | instid1(VALU_DEP_2)
	v_add_f16_e32 v11, v1, v20
	v_fmamk_f16 v10, v0, 0xbaee, v3
	v_fmac_f16_e32 v3, 0x3aee, v0
	v_add_f16_e32 v0, v20, v21
	s_delay_alu instid0(VALU_DEP_1) | instskip(SKIP_1) | instid1(VALU_DEP_1)
	v_fmac_f16_e32 v1, -0.5, v0
	v_sub_f16_e32 v0, v18, v19
	v_fmamk_f16 v12, v0, 0x3aee, v1
	v_fmac_f16_e32 v1, 0xbaee, v0
	s_delay_alu instid0(VALU_DEP_1) | instskip(SKIP_4) | instid1(VALU_DEP_2)
	v_pack_b32_f16 v0, v3, v1
	scratch_load_b32 v3, off, off offset:304 th:TH_LOAD_LU ; 4-byte Folded Reload
	v_add_f16_e32 v1, v2, v19
	v_add_f16_e32 v2, v11, v21
	v_sub_f16_e32 v11, v22, v24
	v_pack_b32_f16 v1, v1, v2
	v_pack_b32_f16 v2, v10, v12
	s_wait_loadcnt 0x0
	ds_store_2addr_b32 v3, v1, v2 offset1:50
	ds_store_b32 v3, v0 offset:400
	v_lshrrev_b32_e32 v0, 16, v4
	v_add_f16_e32 v2, v23, v25
	v_add_f16_e32 v10, v22, v24
	v_sub_f16_e32 v3, v23, v25
	s_delay_alu instid0(VALU_DEP_4) | instskip(NEXT) | instid1(VALU_DEP_4)
	v_add_f16_e32 v1, v0, v23
	v_fmac_f16_e32 v0, -0.5, v2
	v_add_f16_e32 v2, v4, v22
	s_delay_alu instid0(VALU_DEP_3) | instskip(NEXT) | instid1(VALU_DEP_2)
	v_add_f16_e32 v1, v1, v25
	v_add_f16_e32 v2, v2, v24
	v_lshrrev_b32_e32 v24, 16, v240
	s_delay_alu instid0(VALU_DEP_2) | instskip(SKIP_3) | instid1(VALU_DEP_3)
	v_pack_b32_f16 v1, v2, v1
	v_fma_f16 v2, -0.5, v10, v4
	v_fmamk_f16 v10, v11, 0x3aee, v0
	v_fmac_f16_e32 v0, 0xbaee, v11
	v_fmamk_f16 v4, v3, 0xbaee, v2
	v_fmac_f16_e32 v2, 0x3aee, v3
	s_delay_alu instid0(VALU_DEP_2)
	v_pack_b32_f16 v4, v4, v10
	scratch_load_b32 v10, off, off offset:308 th:TH_LOAD_LU ; 4-byte Folded Reload
	v_pack_b32_f16 v0, v2, v0
	v_add_f16_e32 v2, v5, v26
	s_wait_loadcnt 0x0
	ds_store_b32 v10, v0 offset:400
	v_add_f16_e32 v0, v26, v27
	ds_store_2addr_b32 v10, v1, v4 offset1:50
	v_lshrrev_b32_e32 v1, 16, v5
	v_fmac_f16_e32 v5, -0.5, v0
	v_sub_f16_e32 v0, v28, v29
	s_delay_alu instid0(VALU_DEP_3) | instskip(NEXT) | instid1(VALU_DEP_2)
	v_add_f16_e32 v4, v1, v28
	v_fmamk_f16 v3, v0, 0xbaee, v5
	v_fmac_f16_e32 v5, 0x3aee, v0
	v_add_f16_e32 v0, v28, v29
	s_delay_alu instid0(VALU_DEP_1) | instskip(SKIP_1) | instid1(VALU_DEP_1)
	v_fmac_f16_e32 v1, -0.5, v0
	v_sub_f16_e32 v0, v26, v27
	v_fmamk_f16 v10, v0, 0x3aee, v1
	v_fmac_f16_e32 v1, 0xbaee, v0
	s_delay_alu instid0(VALU_DEP_1) | instskip(SKIP_4) | instid1(VALU_DEP_3)
	v_pack_b32_f16 v0, v5, v1
	v_add_f16_e32 v1, v2, v27
	v_add_f16_e32 v2, v4, v29
	v_add_f16_e32 v4, v30, v32
	v_sub_f16_e32 v5, v30, v32
	v_pack_b32_f16 v1, v1, v2
	v_pack_b32_f16 v2, v3, v10
	scratch_load_b32 v3, off, off offset:312 th:TH_LOAD_LU ; 4-byte Folded Reload
	s_wait_loadcnt 0x0
	ds_store_2addr_b32 v3, v1, v2 offset1:50
	ds_store_b32 v3, v0 offset:400
	v_lshrrev_b32_e32 v0, 16, v6
	v_add_f16_e32 v2, v31, v33
	v_sub_f16_e32 v3, v31, v33
	s_delay_alu instid0(VALU_DEP_3) | instskip(NEXT) | instid1(VALU_DEP_3)
	v_add_f16_e32 v1, v0, v31
	v_fmac_f16_e32 v0, -0.5, v2
	v_add_f16_e32 v2, v6, v30
	s_delay_alu instid0(VALU_DEP_3) | instskip(NEXT) | instid1(VALU_DEP_2)
	v_add_f16_e32 v1, v1, v33
	v_add_f16_e32 v2, v2, v32
	v_lshrrev_b32_e32 v32, 16, v199
	s_delay_alu instid0(VALU_DEP_2) | instskip(SKIP_3) | instid1(VALU_DEP_3)
	v_pack_b32_f16 v1, v2, v1
	v_fma_f16 v2, -0.5, v4, v6
	v_fmamk_f16 v6, v5, 0x3aee, v0
	v_fmac_f16_e32 v0, 0xbaee, v5
	v_fmamk_f16 v4, v3, 0xbaee, v2
	v_fmac_f16_e32 v2, 0x3aee, v3
	s_delay_alu instid0(VALU_DEP_2)
	v_pack_b32_f16 v4, v4, v6
	scratch_load_b32 v6, off, off offset:316 th:TH_LOAD_LU ; 4-byte Folded Reload
	v_pack_b32_f16 v0, v2, v0
	v_add_f16_e32 v2, v7, v34
	s_wait_loadcnt 0x0
	ds_store_b32 v6, v0 offset:400
	v_add_f16_e32 v0, v34, v35
	ds_store_2addr_b32 v6, v1, v4 offset1:50
	v_lshrrev_b32_e32 v1, 16, v7
	v_fmac_f16_e32 v7, -0.5, v0
	v_sub_f16_e32 v0, v36, v37
	s_delay_alu instid0(VALU_DEP_3) | instskip(NEXT) | instid1(VALU_DEP_2)
	v_add_f16_e32 v4, v1, v36
	v_fmamk_f16 v3, v0, 0xbaee, v7
	v_fmac_f16_e32 v7, 0x3aee, v0
	v_add_f16_e32 v0, v36, v37
	s_delay_alu instid0(VALU_DEP_1) | instskip(SKIP_1) | instid1(VALU_DEP_1)
	v_fmac_f16_e32 v1, -0.5, v0
	v_sub_f16_e32 v0, v34, v35
	v_fmamk_f16 v5, v0, 0x3aee, v1
	v_fmac_f16_e32 v1, 0xbaee, v0
	s_delay_alu instid0(VALU_DEP_1) | instskip(SKIP_3) | instid1(VALU_DEP_2)
	v_pack_b32_f16 v0, v7, v1
	v_add_f16_e32 v1, v2, v35
	v_add_f16_e32 v2, v4, v37
	;; [unrolled: 1-line block ×3, first 2 shown]
	v_pack_b32_f16 v1, v1, v2
	v_pack_b32_f16 v2, v3, v5
	scratch_load_b32 v3, off, off offset:320 th:TH_LOAD_LU ; 4-byte Folded Reload
	s_wait_loadcnt 0x0
	ds_store_2addr_b32 v3, v1, v2 offset1:50
	ds_store_b32 v3, v0 offset:400
	v_lshrrev_b32_e32 v0, 16, v8
	v_add_f16_e32 v2, v39, v41
	v_sub_f16_e32 v3, v39, v41
	v_sub_f16_e32 v5, v38, v40
	s_delay_alu instid0(VALU_DEP_4) | instskip(NEXT) | instid1(VALU_DEP_4)
	v_add_f16_e32 v1, v0, v39
	v_fmac_f16_e32 v0, -0.5, v2
	v_add_f16_e32 v2, v8, v38
	s_delay_alu instid0(VALU_DEP_3) | instskip(NEXT) | instid1(VALU_DEP_3)
	v_add_f16_e32 v1, v1, v41
	v_fmamk_f16 v6, v5, 0x3aee, v0
	s_delay_alu instid0(VALU_DEP_3) | instskip(SKIP_2) | instid1(VALU_DEP_3)
	v_add_f16_e32 v2, v2, v40
	v_fmac_f16_e32 v0, 0xbaee, v5
	v_lshrrev_b32_e32 v40, 16, v247
	v_pack_b32_f16 v1, v2, v1
	v_fma_f16 v2, -0.5, v4, v8
	v_lshrrev_b32_e32 v8, 16, v201
	s_delay_alu instid0(VALU_DEP_2) | instskip(SKIP_1) | instid1(VALU_DEP_2)
	v_fmamk_f16 v4, v3, 0xbaee, v2
	v_fmac_f16_e32 v2, 0x3aee, v3
	v_pack_b32_f16 v4, v4, v6
	scratch_load_b32 v6, off, off offset:328 th:TH_LOAD_LU ; 4-byte Folded Reload
	v_pack_b32_f16 v0, v2, v0
	v_add_f16_e32 v2, v9, v42
	s_wait_loadcnt 0x0
	ds_store_b32 v6, v0 offset:400
	v_add_f16_e32 v0, v42, v43
	ds_store_2addr_b32 v6, v1, v4 offset1:50
	v_lshrrev_b32_e32 v1, 16, v9
	v_fmac_f16_e32 v9, -0.5, v0
	v_sub_f16_e32 v0, v44, v45
	s_delay_alu instid0(VALU_DEP_3) | instskip(NEXT) | instid1(VALU_DEP_2)
	v_add_f16_e32 v4, v1, v44
	v_fmamk_f16 v3, v0, 0xbaee, v9
	v_fmac_f16_e32 v9, 0x3aee, v0
	v_add_f16_e32 v0, v44, v45
	s_delay_alu instid0(VALU_DEP_1) | instskip(SKIP_1) | instid1(VALU_DEP_1)
	v_fmac_f16_e32 v1, -0.5, v0
	v_sub_f16_e32 v0, v42, v43
	v_fmamk_f16 v5, v0, 0x3aee, v1
	v_fmac_f16_e32 v1, 0xbaee, v0
	s_delay_alu instid0(VALU_DEP_1) | instskip(SKIP_3) | instid1(VALU_DEP_2)
	v_pack_b32_f16 v0, v9, v1
	v_add_f16_e32 v1, v2, v43
	v_add_f16_e32 v2, v4, v45
	v_lshrrev_b32_e32 v4, 16, v200
	v_pack_b32_f16 v1, v1, v2
	v_pack_b32_f16 v2, v3, v5
	scratch_load_b32 v3, off, off offset:324 th:TH_LOAD_LU ; 4-byte Folded Reload
	s_wait_loadcnt 0x0
	ds_store_2addr_b32 v3, v1, v2 offset1:50
	ds_store_b32 v3, v0 offset:400
	global_wb scope:SCOPE_SE
	s_wait_dscnt 0x0
	s_barrier_signal -1
	s_barrier_wait -1
	global_inv scope:SCOPE_SE
	ds_load_2addr_b32 v[0:1], v209 offset0:70 offset1:205
	s_wait_dscnt 0x0
	v_lshrrev_b32_e32 v2, 16, v0
	v_mul_f16_e32 v3, v4, v0
	s_delay_alu instid0(VALU_DEP_2) | instskip(NEXT) | instid1(VALU_DEP_2)
	v_mul_f16_e32 v4, v4, v2
	v_fma_f16 v5, v200, v2, -v3
	ds_load_2addr_b32 v[2:3], v180 offset0:12 offset1:147
	v_fmac_f16_e64 v4, v200, v0
	v_lshrrev_b32_e32 v0, 16, v1
	s_wait_dscnt 0x0
	v_lshrrev_b32_e32 v6, 16, v2
	v_mul_f16_e32 v7, v8, v2
	s_delay_alu instid0(VALU_DEP_2) | instskip(NEXT) | instid1(VALU_DEP_2)
	v_mul_f16_e32 v8, v8, v6
	v_fma_f16 v6, v201, v6, -v7
	v_lshrrev_b32_e32 v7, 16, v252
	s_delay_alu instid0(VALU_DEP_3) | instskip(SKIP_1) | instid1(VALU_DEP_4)
	v_fmac_f16_e64 v8, v201, v2
	v_lshrrev_b32_e32 v2, 16, v251
	v_sub_f16_e32 v47, v5, v6
	s_delay_alu instid0(VALU_DEP_3) | instskip(NEXT) | instid1(VALU_DEP_3)
	v_sub_f16_e32 v48, v4, v8
	v_mul_f16_e32 v10, v2, v0
	s_delay_alu instid0(VALU_DEP_1) | instskip(SKIP_2) | instid1(VALU_DEP_2)
	v_fmac_f16_e64 v10, v251, v1
	v_mul_f16_e32 v1, v2, v1
	v_lshrrev_b32_e32 v2, 16, v3
	v_fma_f16 v12, v251, v0, -v1
	ds_load_2addr_b32 v[0:1], v178 offset0:84 offset1:219
	v_mul_f16_e32 v11, v7, v2
	v_mul_f16_e32 v7, v7, v3
	s_delay_alu instid0(VALU_DEP_2) | instskip(NEXT) | instid1(VALU_DEP_2)
	v_fmac_f16_e64 v11, v252, v3
	v_fma_f16 v13, v252, v2, -v7
	v_lshrrev_b32_e32 v7, 16, v248
	s_wait_dscnt 0x0
	v_lshrrev_b32_e32 v2, 16, v0
	s_delay_alu instid0(VALU_DEP_2) | instskip(NEXT) | instid1(VALU_DEP_2)
	v_mul_f16_e32 v3, v7, v0
	v_mul_f16_e32 v14, v7, v2
	s_delay_alu instid0(VALU_DEP_2)
	v_fma_f16 v15, v248, v2, -v3
	ds_load_2addr_b32 v[2:3], v179 offset0:26 offset1:161
	v_fmac_f16_e64 v14, v248, v0
	v_lshrrev_b32_e32 v0, 16, v1
	s_wait_dscnt 0x0
	v_lshrrev_b32_e32 v7, 16, v2
	v_mul_f16_e32 v9, v16, v2
	s_delay_alu instid0(VALU_DEP_2) | instskip(NEXT) | instid1(VALU_DEP_2)
	v_mul_f16_e32 v16, v16, v7
	v_fma_f16 v17, v249, v7, -v9
	v_lshrrev_b32_e32 v7, 16, v245
	s_delay_alu instid0(VALU_DEP_3) | instskip(SKIP_1) | instid1(VALU_DEP_1)
	v_fmac_f16_e64 v16, v249, v2
	v_lshrrev_b32_e32 v2, 16, v244
	v_mul_f16_e32 v18, v2, v0
	s_delay_alu instid0(VALU_DEP_1) | instskip(SKIP_2) | instid1(VALU_DEP_2)
	v_fmac_f16_e64 v18, v244, v1
	v_mul_f16_e32 v1, v2, v1
	v_lshrrev_b32_e32 v2, 16, v3
	v_fma_f16 v20, v244, v0, -v1
	ds_load_2addr_b32 v[0:1], v182 offset0:98 offset1:233
	v_mul_f16_e32 v19, v7, v2
	v_mul_f16_e32 v7, v7, v3
	s_delay_alu instid0(VALU_DEP_2) | instskip(NEXT) | instid1(VALU_DEP_2)
	v_fmac_f16_e64 v19, v245, v3
	v_fma_f16 v21, v245, v2, -v7
	v_lshrrev_b32_e32 v7, 16, v239
	s_wait_dscnt 0x0
	v_lshrrev_b32_e32 v2, 16, v0
	s_delay_alu instid0(VALU_DEP_2) | instskip(NEXT) | instid1(VALU_DEP_2)
	v_mul_f16_e32 v3, v7, v0
	v_mul_f16_e32 v22, v7, v2
	s_delay_alu instid0(VALU_DEP_2)
	v_fma_f16 v23, v239, v2, -v3
	ds_load_2addr_b32 v[2:3], v177 offset0:40 offset1:175
	v_fmac_f16_e64 v22, v239, v0
	v_lshrrev_b32_e32 v0, 16, v1
	s_wait_dscnt 0x0
	v_lshrrev_b32_e32 v7, 16, v2
	v_mul_f16_e32 v9, v24, v2
	s_delay_alu instid0(VALU_DEP_2) | instskip(NEXT) | instid1(VALU_DEP_2)
	v_mul_f16_e32 v24, v24, v7
	v_fma_f16 v25, v240, v7, -v9
	v_lshrrev_b32_e32 v7, 16, v197
	s_delay_alu instid0(VALU_DEP_3) | instskip(SKIP_1) | instid1(VALU_DEP_1)
	v_fmac_f16_e64 v24, v240, v2
	v_lshrrev_b32_e32 v2, 16, v196
	;; [unrolled: 33-line block ×4, first 2 shown]
	v_mul_f16_e32 v42, v2, v0
	s_delay_alu instid0(VALU_DEP_1) | instskip(SKIP_2) | instid1(VALU_DEP_2)
	v_fmac_f16_e64 v42, v242, v1
	v_mul_f16_e32 v1, v2, v1
	v_lshrrev_b32_e32 v2, 16, v3
	v_fma_f16 v44, v242, v0, -v1
	ds_load_2addr_b32 v[0:1], v174 offset1:135
	v_mul_f16_e32 v43, v7, v2
	v_mul_f16_e32 v7, v7, v3
	s_delay_alu instid0(VALU_DEP_2) | instskip(SKIP_1) | instid1(VALU_DEP_3)
	v_fmac_f16_e64 v43, v243, v3
	v_add_f16_e32 v3, v5, v6
	v_fma_f16 v45, v243, v2, -v7
	s_wait_dscnt 0x0
	v_lshrrev_b32_e32 v46, 16, v0
	v_add_f16_e32 v51, v1, v10
	s_delay_alu instid0(VALU_DEP_2) | instskip(SKIP_3) | instid1(VALU_DEP_4)
	v_add_f16_e32 v2, v46, v5
	v_fmac_f16_e32 v46, -0.5, v3
	v_add_f16_e32 v3, v0, v4
	v_add_f16_e32 v5, v4, v8
	v_add_f16_e32 v2, v2, v6
	s_delay_alu instid0(VALU_DEP_3) | instskip(NEXT) | instid1(VALU_DEP_3)
	v_add_f16_e32 v3, v3, v8
	v_fma_f16 v0, -0.5, v5, v0
	s_delay_alu instid0(VALU_DEP_2) | instskip(NEXT) | instid1(VALU_DEP_2)
	v_pack_b32_f16 v49, v3, v2
	v_fmamk_f16 v2, v47, 0xbaee, v0
	v_fmamk_f16 v3, v48, 0x3aee, v46
	v_fmac_f16_e32 v0, 0x3aee, v47
	v_fmac_f16_e32 v46, 0xbaee, v48
	s_delay_alu instid0(VALU_DEP_3)
	v_pack_b32_f16 v50, v2, v3
	ds_load_2addr_b32 v[2:3], v185 offset0:14 offset1:149
	ds_load_2addr_b32 v[4:5], v153 offset0:28 offset1:163
	;; [unrolled: 1-line block ×4, first 2 shown]
	v_pack_b32_f16 v0, v0, v46
	global_wb scope:SCOPE_SE
	s_wait_dscnt 0x0
	s_barrier_signal -1
	s_barrier_wait -1
	global_inv scope:SCOPE_SE
	ds_store_b32 v174, v0 offset:1200
	scratch_load_b32 v0, off, off offset:252 th:TH_LOAD_LU ; 4-byte Folded Reload
	ds_store_2addr_b32 v174, v49, v50 offset1:150
	v_add_f16_e32 v49, v10, v11
	v_lshrrev_b32_e32 v50, 16, v1
	v_sub_f16_e32 v10, v10, v11
	s_delay_alu instid0(VALU_DEP_3) | instskip(SKIP_1) | instid1(VALU_DEP_1)
	v_fmac_f16_e32 v1, -0.5, v49
	v_sub_f16_e32 v49, v12, v13
	v_fmamk_f16 v52, v49, 0xbaee, v1
	v_fmac_f16_e32 v1, 0x3aee, v49
	v_add_f16_e32 v49, v12, v13
	v_add_f16_e32 v12, v50, v12
	s_delay_alu instid0(VALU_DEP_2) | instskip(NEXT) | instid1(VALU_DEP_1)
	v_fmac_f16_e32 v50, -0.5, v49
	v_fmamk_f16 v49, v10, 0x3aee, v50
	v_fmac_f16_e32 v50, 0xbaee, v10
	v_add_f16_e32 v10, v51, v11
	v_add_f16_e32 v11, v12, v13
	;; [unrolled: 1-line block ×3, first 2 shown]
	v_sub_f16_e32 v13, v14, v16
	v_pack_b32_f16 v1, v1, v50
	s_delay_alu instid0(VALU_DEP_4)
	v_pack_b32_f16 v10, v10, v11
	v_pack_b32_f16 v11, v52, v49
	s_wait_loadcnt 0x0
	ds_store_2addr_b32 v0, v10, v11 offset1:150
	ds_store_b32 v0, v1 offset:1200
	v_lshrrev_b32_e32 v0, 16, v2
	v_add_f16_e32 v10, v15, v17
	v_sub_f16_e32 v11, v15, v17
	s_delay_alu instid0(VALU_DEP_3) | instskip(NEXT) | instid1(VALU_DEP_3)
	v_add_f16_e32 v1, v0, v15
	v_fmac_f16_e32 v0, -0.5, v10
	v_add_f16_e32 v10, v2, v14
	v_fma_f16 v2, -0.5, v12, v2
	s_delay_alu instid0(VALU_DEP_4) | instskip(NEXT) | instid1(VALU_DEP_4)
	v_add_f16_e32 v1, v1, v17
	v_fmamk_f16 v12, v13, 0x3aee, v0
	s_delay_alu instid0(VALU_DEP_4) | instskip(SKIP_2) | instid1(VALU_DEP_3)
	v_add_f16_e32 v10, v10, v16
	v_fmac_f16_e32 v0, 0xbaee, v13
	v_lshrrev_b32_e32 v16, 16, v84
	v_pack_b32_f16 v1, v10, v1
	v_fmamk_f16 v10, v11, 0xbaee, v2
	v_fmac_f16_e32 v2, 0x3aee, v11
	s_delay_alu instid0(VALU_DEP_2)
	v_pack_b32_f16 v10, v10, v12
	scratch_load_b32 v12, off, off offset:256 th:TH_LOAD_LU ; 4-byte Folded Reload
	v_pack_b32_f16 v0, v2, v0
	v_add_f16_e32 v2, v3, v18
	s_wait_loadcnt 0x0
	ds_store_b32 v12, v0 offset:1200
	v_add_f16_e32 v0, v18, v19
	ds_store_2addr_b32 v12, v1, v10 offset1:150
	v_lshrrev_b32_e32 v1, 16, v3
	v_fmac_f16_e32 v3, -0.5, v0
	v_sub_f16_e32 v0, v20, v21
	s_delay_alu instid0(VALU_DEP_3) | instskip(NEXT) | instid1(VALU_DEP_2)
	v_add_f16_e32 v11, v1, v20
	v_fmamk_f16 v10, v0, 0xbaee, v3
	v_fmac_f16_e32 v3, 0x3aee, v0
	v_add_f16_e32 v0, v20, v21
	s_delay_alu instid0(VALU_DEP_1) | instskip(SKIP_1) | instid1(VALU_DEP_1)
	v_fmac_f16_e32 v1, -0.5, v0
	v_sub_f16_e32 v0, v18, v19
	v_fmamk_f16 v12, v0, 0x3aee, v1
	v_fmac_f16_e32 v1, 0xbaee, v0
	s_delay_alu instid0(VALU_DEP_1) | instskip(SKIP_4) | instid1(VALU_DEP_2)
	v_pack_b32_f16 v0, v3, v1
	scratch_load_b32 v3, off, off offset:260 th:TH_LOAD_LU ; 4-byte Folded Reload
	v_add_f16_e32 v1, v2, v19
	v_add_f16_e32 v2, v11, v21
	v_sub_f16_e32 v11, v22, v24
	v_pack_b32_f16 v1, v1, v2
	v_pack_b32_f16 v2, v10, v12
	s_wait_loadcnt 0x0
	ds_store_2addr_b32 v3, v1, v2 offset1:150
	ds_store_b32 v3, v0 offset:1200
	v_lshrrev_b32_e32 v0, 16, v4
	v_add_f16_e32 v2, v23, v25
	v_add_f16_e32 v10, v22, v24
	v_sub_f16_e32 v3, v23, v25
	s_delay_alu instid0(VALU_DEP_4) | instskip(NEXT) | instid1(VALU_DEP_4)
	v_add_f16_e32 v1, v0, v23
	v_fmac_f16_e32 v0, -0.5, v2
	v_add_f16_e32 v2, v4, v22
	s_delay_alu instid0(VALU_DEP_3) | instskip(NEXT) | instid1(VALU_DEP_2)
	v_add_f16_e32 v1, v1, v25
	v_add_f16_e32 v2, v2, v24
	s_delay_alu instid0(VALU_DEP_1) | instskip(SKIP_3) | instid1(VALU_DEP_3)
	v_pack_b32_f16 v1, v2, v1
	v_fma_f16 v2, -0.5, v10, v4
	v_fmamk_f16 v10, v11, 0x3aee, v0
	v_fmac_f16_e32 v0, 0xbaee, v11
	v_fmamk_f16 v4, v3, 0xbaee, v2
	v_fmac_f16_e32 v2, 0x3aee, v3
	s_delay_alu instid0(VALU_DEP_2)
	v_pack_b32_f16 v4, v4, v10
	scratch_load_b32 v10, off, off offset:264 th:TH_LOAD_LU ; 4-byte Folded Reload
	v_pack_b32_f16 v0, v2, v0
	v_add_f16_e32 v2, v5, v26
	s_wait_loadcnt 0x0
	ds_store_b32 v10, v0 offset:1200
	v_add_f16_e32 v0, v26, v27
	ds_store_2addr_b32 v10, v1, v4 offset1:150
	v_lshrrev_b32_e32 v1, 16, v5
	v_fmac_f16_e32 v5, -0.5, v0
	v_sub_f16_e32 v0, v28, v29
	s_delay_alu instid0(VALU_DEP_3) | instskip(NEXT) | instid1(VALU_DEP_2)
	v_add_f16_e32 v4, v1, v28
	v_fmamk_f16 v3, v0, 0xbaee, v5
	v_fmac_f16_e32 v5, 0x3aee, v0
	v_add_f16_e32 v0, v28, v29
	s_delay_alu instid0(VALU_DEP_1) | instskip(SKIP_1) | instid1(VALU_DEP_1)
	v_fmac_f16_e32 v1, -0.5, v0
	v_sub_f16_e32 v0, v26, v27
	v_fmamk_f16 v10, v0, 0x3aee, v1
	v_fmac_f16_e32 v1, 0xbaee, v0
	s_delay_alu instid0(VALU_DEP_1) | instskip(SKIP_4) | instid1(VALU_DEP_3)
	v_pack_b32_f16 v0, v5, v1
	v_add_f16_e32 v1, v2, v27
	v_add_f16_e32 v2, v4, v29
	;; [unrolled: 1-line block ×3, first 2 shown]
	v_sub_f16_e32 v5, v30, v32
	v_pack_b32_f16 v1, v1, v2
	v_pack_b32_f16 v2, v3, v10
	scratch_load_b32 v3, off, off offset:268 th:TH_LOAD_LU ; 4-byte Folded Reload
	s_wait_loadcnt 0x0
	ds_store_2addr_b32 v3, v1, v2 offset1:150
	ds_store_b32 v3, v0 offset:1200
	v_lshrrev_b32_e32 v0, 16, v6
	v_add_f16_e32 v2, v31, v33
	v_sub_f16_e32 v3, v31, v33
	s_delay_alu instid0(VALU_DEP_3) | instskip(NEXT) | instid1(VALU_DEP_3)
	v_add_f16_e32 v1, v0, v31
	v_fmac_f16_e32 v0, -0.5, v2
	v_add_f16_e32 v2, v6, v30
	s_delay_alu instid0(VALU_DEP_3) | instskip(NEXT) | instid1(VALU_DEP_2)
	v_add_f16_e32 v1, v1, v33
	v_add_f16_e32 v2, v2, v32
	s_delay_alu instid0(VALU_DEP_1) | instskip(SKIP_3) | instid1(VALU_DEP_3)
	v_pack_b32_f16 v1, v2, v1
	v_fma_f16 v2, -0.5, v4, v6
	v_fmamk_f16 v6, v5, 0x3aee, v0
	v_fmac_f16_e32 v0, 0xbaee, v5
	v_fmamk_f16 v4, v3, 0xbaee, v2
	v_fmac_f16_e32 v2, 0x3aee, v3
	s_delay_alu instid0(VALU_DEP_2)
	v_pack_b32_f16 v4, v4, v6
	scratch_load_b32 v6, off, off offset:272 th:TH_LOAD_LU ; 4-byte Folded Reload
	v_pack_b32_f16 v0, v2, v0
	v_add_f16_e32 v2, v7, v34
	s_wait_loadcnt 0x0
	ds_store_b32 v6, v0 offset:1200
	v_add_f16_e32 v0, v34, v35
	ds_store_2addr_b32 v6, v1, v4 offset1:150
	v_lshrrev_b32_e32 v1, 16, v7
	v_fmac_f16_e32 v7, -0.5, v0
	v_sub_f16_e32 v0, v36, v37
	s_delay_alu instid0(VALU_DEP_3) | instskip(NEXT) | instid1(VALU_DEP_2)
	v_add_f16_e32 v4, v1, v36
	v_fmamk_f16 v3, v0, 0xbaee, v7
	v_fmac_f16_e32 v7, 0x3aee, v0
	v_add_f16_e32 v0, v36, v37
	s_delay_alu instid0(VALU_DEP_1) | instskip(SKIP_1) | instid1(VALU_DEP_1)
	v_fmac_f16_e32 v1, -0.5, v0
	v_sub_f16_e32 v0, v34, v35
	v_fmamk_f16 v5, v0, 0x3aee, v1
	v_fmac_f16_e32 v1, 0xbaee, v0
	s_delay_alu instid0(VALU_DEP_1) | instskip(SKIP_3) | instid1(VALU_DEP_2)
	v_pack_b32_f16 v0, v7, v1
	v_add_f16_e32 v1, v2, v35
	v_add_f16_e32 v2, v4, v37
	;; [unrolled: 1-line block ×3, first 2 shown]
	v_pack_b32_f16 v1, v1, v2
	v_pack_b32_f16 v2, v3, v5
	scratch_load_b32 v3, off, off offset:276 th:TH_LOAD_LU ; 4-byte Folded Reload
	s_wait_loadcnt 0x0
	ds_store_2addr_b32 v3, v1, v2 offset1:150
	ds_store_b32 v3, v0 offset:1200
	v_lshrrev_b32_e32 v0, 16, v8
	v_add_f16_e32 v2, v39, v41
	v_sub_f16_e32 v3, v39, v41
	v_sub_f16_e32 v5, v38, v40
	s_delay_alu instid0(VALU_DEP_4) | instskip(NEXT) | instid1(VALU_DEP_4)
	v_add_f16_e32 v1, v0, v39
	v_fmac_f16_e32 v0, -0.5, v2
	v_add_f16_e32 v2, v8, v38
	s_delay_alu instid0(VALU_DEP_3) | instskip(NEXT) | instid1(VALU_DEP_3)
	v_add_f16_e32 v1, v1, v41
	v_fmamk_f16 v6, v5, 0x3aee, v0
	s_delay_alu instid0(VALU_DEP_3) | instskip(SKIP_1) | instid1(VALU_DEP_2)
	v_add_f16_e32 v2, v2, v40
	v_fmac_f16_e32 v0, 0xbaee, v5
	v_pack_b32_f16 v1, v2, v1
	v_fma_f16 v2, -0.5, v4, v8
	v_lshrrev_b32_e32 v8, 16, v237
	s_delay_alu instid0(VALU_DEP_2) | instskip(SKIP_2) | instid1(VALU_DEP_3)
	v_fmamk_f16 v4, v3, 0xbaee, v2
	v_fmac_f16_e32 v2, 0x3aee, v3
	v_add_f16_e32 v3, v44, v45
	v_pack_b32_f16 v4, v4, v6
	scratch_load_b32 v6, off, off offset:288 th:TH_LOAD_LU ; 4-byte Folded Reload
	v_pack_b32_f16 v0, v2, v0
	v_add_f16_e32 v2, v9, v42
	s_delay_alu instid0(VALU_DEP_1)
	v_add_f16_e32 v2, v2, v43
	s_wait_loadcnt 0x0
	ds_store_2addr_b32 v6, v1, v4 offset1:150
	ds_store_b32 v6, v0 offset:1200
	v_add_f16_e32 v0, v42, v43
	v_lshrrev_b32_e32 v1, 16, v9
	v_sub_f16_e32 v4, v44, v45
	s_delay_alu instid0(VALU_DEP_3) | instskip(NEXT) | instid1(VALU_DEP_3)
	v_fmac_f16_e32 v9, -0.5, v0
	v_add_f16_e32 v0, v1, v44
	v_fmac_f16_e32 v1, -0.5, v3
	v_sub_f16_e32 v3, v42, v43
	s_delay_alu instid0(VALU_DEP_3) | instskip(NEXT) | instid1(VALU_DEP_2)
	v_add_f16_e32 v0, v0, v45
	v_fmamk_f16 v5, v3, 0x3aee, v1
	v_fmac_f16_e32 v1, 0xbaee, v3
	s_delay_alu instid0(VALU_DEP_3) | instskip(SKIP_3) | instid1(VALU_DEP_3)
	v_pack_b32_f16 v0, v2, v0
	v_fmamk_f16 v2, v4, 0xbaee, v9
	v_fmac_f16_e32 v9, 0x3aee, v4
	v_lshrrev_b32_e32 v4, 16, v236
	v_pack_b32_f16 v2, v2, v5
	scratch_load_b32 v5, off, off offset:280 th:TH_LOAD_LU ; 4-byte Folded Reload
	s_wait_loadcnt 0x0
	ds_store_2addr_b32 v5, v0, v2 offset0:16 offset1:166
	v_pack_b32_f16 v0, v9, v1
	scratch_load_b32 v1, off, off offset:284 th:TH_LOAD_LU ; 4-byte Folded Reload
	s_wait_loadcnt 0x0
	ds_store_b32 v1, v0 offset:15600
	global_wb scope:SCOPE_SE
	s_wait_dscnt 0x0
	s_barrier_signal -1
	s_barrier_wait -1
	global_inv scope:SCOPE_SE
	ds_load_2addr_b32 v[0:1], v209 offset0:70 offset1:205
	s_wait_dscnt 0x0
	v_lshrrev_b32_e32 v2, 16, v0
	v_mul_f16_e32 v3, v4, v0
	s_delay_alu instid0(VALU_DEP_2) | instskip(NEXT) | instid1(VALU_DEP_2)
	v_mul_f16_e32 v4, v4, v2
	v_fma_f16 v5, v236, v2, -v3
	ds_load_2addr_b32 v[2:3], v180 offset0:12 offset1:147
	v_fmac_f16_e64 v4, v236, v0
	v_lshrrev_b32_e32 v0, 16, v1
	s_wait_dscnt 0x0
	v_lshrrev_b32_e32 v6, 16, v2
	v_mul_f16_e32 v7, v8, v2
	s_delay_alu instid0(VALU_DEP_2) | instskip(NEXT) | instid1(VALU_DEP_2)
	v_mul_f16_e32 v8, v8, v6
	v_fma_f16 v6, v237, v6, -v7
	v_lshrrev_b32_e32 v7, 16, v80
	s_delay_alu instid0(VALU_DEP_3) | instskip(SKIP_1) | instid1(VALU_DEP_1)
	v_fmac_f16_e64 v8, v237, v2
	v_lshrrev_b32_e32 v2, 16, v79
	v_mul_f16_e32 v10, v2, v0
	s_delay_alu instid0(VALU_DEP_1) | instskip(SKIP_2) | instid1(VALU_DEP_2)
	v_fmac_f16_e32 v10, v79, v1
	v_mul_f16_e32 v1, v2, v1
	v_lshrrev_b32_e32 v2, 16, v3
	v_fma_f16 v12, v79, v0, -v1
	ds_load_2addr_b32 v[0:1], v178 offset0:84 offset1:219
	v_mul_f16_e32 v11, v7, v2
	v_mul_f16_e32 v7, v7, v3
	s_delay_alu instid0(VALU_DEP_2) | instskip(NEXT) | instid1(VALU_DEP_2)
	v_fmac_f16_e32 v11, v80, v3
	v_fma_f16 v13, v80, v2, -v7
	s_wait_dscnt 0x0
	v_lshrrev_b32_e32 v2, 16, v0
	v_mul_f16_e64 v3, v226, v0
	s_delay_alu instid0(VALU_DEP_2) | instskip(NEXT) | instid1(VALU_DEP_2)
	v_mul_f16_e64 v14, v226, v2
	v_fma_f16 v15, v83, v2, -v3
	ds_load_2addr_b32 v[2:3], v179 offset0:26 offset1:161
	v_fmac_f16_e32 v14, v83, v0
	v_lshrrev_b32_e32 v0, 16, v1
	s_delay_alu instid0(VALU_DEP_1) | instskip(NEXT) | instid1(VALU_DEP_1)
	v_mul_f16_e64 v18, v215, v0
	v_fmac_f16_e32 v18, v81, v1
	v_mul_f16_e64 v1, v215, v1
	s_wait_dscnt 0x0
	v_lshrrev_b32_e32 v7, 16, v2
	s_delay_alu instid0(VALU_DEP_2) | instskip(SKIP_3) | instid1(VALU_DEP_2)
	v_fma_f16 v20, v81, v0, -v1
	ds_load_2addr_b32 v[0:1], v182 offset0:98 offset1:233
	v_mul_f16_e32 v9, v16, v2
	v_mul_f16_e32 v16, v16, v7
	v_fma_f16 v17, v84, v7, -v9
	v_mul_f16_e64 v7, v218, v3
	s_delay_alu instid0(VALU_DEP_3) | instskip(SKIP_1) | instid1(VALU_DEP_1)
	v_fmac_f16_e32 v16, v84, v2
	v_lshrrev_b32_e32 v2, 16, v3
	v_mul_f16_e64 v19, v218, v2
	s_delay_alu instid0(VALU_DEP_4) | instskip(NEXT) | instid1(VALU_DEP_2)
	v_fma_f16 v21, v82, v2, -v7
	v_fmac_f16_e32 v19, v82, v3
	s_wait_dscnt 0x0
	v_lshrrev_b32_e32 v2, 16, v0
	v_mul_f16_e64 v3, v202, v0
	s_delay_alu instid0(VALU_DEP_2) | instskip(NEXT) | instid1(VALU_DEP_2)
	v_mul_f16_e64 v22, v202, v2
	v_fma_f16 v23, v69, v2, -v3
	ds_load_2addr_b32 v[2:3], v177 offset0:40 offset1:175
	v_fmac_f16_e32 v22, v69, v0
	v_lshrrev_b32_e32 v0, 16, v1
	s_delay_alu instid0(VALU_DEP_1) | instskip(NEXT) | instid1(VALU_DEP_1)
	v_mul_f16_e64 v26, v214, v0
	v_fmac_f16_e32 v26, v67, v1
	v_mul_f16_e64 v1, v214, v1
	s_wait_dscnt 0x0
	v_lshrrev_b32_e32 v7, 16, v2
	s_delay_alu instid0(VALU_DEP_2) | instskip(SKIP_3) | instid1(VALU_DEP_2)
	v_fma_f16 v28, v67, v0, -v1
	ds_load_2addr_b32 v[0:1], v148 offset0:112 offset1:247
	v_mul_f16_e64 v9, v192, v2
	v_mul_f16_e64 v24, v192, v7
	v_fma_f16 v25, v70, v7, -v9
	v_mul_f16_e64 v7, v213, v3
	s_delay_alu instid0(VALU_DEP_3) | instskip(SKIP_1) | instid1(VALU_DEP_1)
	v_fmac_f16_e32 v24, v70, v2
	v_lshrrev_b32_e32 v2, 16, v3
	v_mul_f16_e64 v27, v213, v2
	s_delay_alu instid0(VALU_DEP_4) | instskip(NEXT) | instid1(VALU_DEP_2)
	v_fma_f16 v29, v68, v2, -v7
	v_fmac_f16_e32 v27, v68, v3
	s_wait_dscnt 0x0
	v_lshrrev_b32_e32 v2, 16, v0
	v_mul_f16_e64 v3, v229, v0
	s_delay_alu instid0(VALU_DEP_2) | instskip(NEXT) | instid1(VALU_DEP_2)
	v_mul_f16_e64 v30, v229, v2
	v_fma_f16 v31, v77, v2, -v3
	ds_load_2addr_b32 v[2:3], v173 offset0:54 offset1:189
	v_fmac_f16_e32 v30, v77, v0
	v_lshrrev_b32_e32 v0, 16, v1
	s_delay_alu instid0(VALU_DEP_1) | instskip(NEXT) | instid1(VALU_DEP_1)
	v_mul_f16_e64 v34, v188, v0
	v_fmac_f16_e32 v34, v75, v1
	v_mul_f16_e64 v1, v188, v1
	s_wait_dscnt 0x0
	v_lshrrev_b32_e32 v7, 16, v2
	s_delay_alu instid0(VALU_DEP_2) | instskip(SKIP_3) | instid1(VALU_DEP_2)
	v_fma_f16 v36, v75, v0, -v1
	ds_load_2addr_b32 v[0:1], v170 offset0:62 offset1:197
	v_mul_f16_e64 v9, v184, v2
	v_mul_f16_e64 v32, v184, v7
	v_fma_f16 v33, v78, v7, -v9
	v_mul_f16_e64 v7, v228, v3
	s_delay_alu instid0(VALU_DEP_3) | instskip(SKIP_1) | instid1(VALU_DEP_1)
	v_fmac_f16_e32 v32, v78, v2
	v_lshrrev_b32_e32 v2, 16, v3
	v_mul_f16_e64 v35, v228, v2
	s_delay_alu instid0(VALU_DEP_4) | instskip(NEXT) | instid1(VALU_DEP_2)
	v_fma_f16 v37, v76, v2, -v7
	v_fmac_f16_e32 v35, v76, v3
	s_wait_dscnt 0x0
	v_lshrrev_b32_e32 v2, 16, v0
	v_mul_f16_e64 v3, v186, v0
	s_delay_alu instid0(VALU_DEP_2) | instskip(NEXT) | instid1(VALU_DEP_2)
	v_mul_f16_e64 v38, v186, v2
	v_fma_f16 v39, v73, v2, -v3
	ds_load_2addr_b32 v[2:3], v165 offset0:68 offset1:203
	v_fmac_f16_e32 v38, v73, v0
	v_lshrrev_b32_e32 v0, 16, v1
	s_delay_alu instid0(VALU_DEP_1) | instskip(NEXT) | instid1(VALU_DEP_1)
	v_mul_f16_e64 v42, v190, v0
	v_fmac_f16_e32 v42, v71, v1
	v_mul_f16_e64 v1, v190, v1
	s_wait_dscnt 0x0
	v_lshrrev_b32_e32 v7, 16, v2
	s_delay_alu instid0(VALU_DEP_2) | instskip(SKIP_3) | instid1(VALU_DEP_2)
	v_fma_f16 v44, v71, v0, -v1
	ds_load_2addr_b32 v[0:1], v174 offset1:135
	v_mul_f16_e64 v9, v238, v2
	v_mul_f16_e64 v40, v238, v7
	v_fma_f16 v41, v74, v7, -v9
	v_mul_f16_e64 v7, v211, v3
	s_delay_alu instid0(VALU_DEP_3) | instskip(SKIP_2) | instid1(VALU_DEP_2)
	v_fmac_f16_e32 v40, v74, v2
	v_lshrrev_b32_e32 v2, 16, v3
	v_add_f16_e32 v9, v4, v8
	v_mul_f16_e64 v43, v211, v2
	v_fma_f16 v45, v72, v2, -v7
	s_delay_alu instid0(VALU_DEP_2) | instskip(SKIP_4) | instid1(VALU_DEP_3)
	v_fmac_f16_e32 v43, v72, v3
	s_wait_dscnt 0x0
	v_lshrrev_b32_e32 v2, 16, v0
	v_add_f16_e32 v3, v5, v6
	v_lshrrev_b32_e32 v48, 16, v1
	v_add_f16_e32 v7, v2, v5
	s_delay_alu instid0(VALU_DEP_3) | instskip(SKIP_4) | instid1(VALU_DEP_4)
	v_fmac_f16_e32 v2, -0.5, v3
	v_add_f16_e32 v3, v0, v4
	v_sub_f16_e32 v4, v4, v8
	v_fma_f16 v0, -0.5, v9, v0
	v_sub_f16_e32 v5, v5, v6
	v_add_f16_e32 v3, v3, v8
	s_delay_alu instid0(VALU_DEP_2) | instskip(SKIP_4) | instid1(VALU_DEP_3)
	v_fmamk_f16 v8, v5, 0xbaee, v0
	v_fmac_f16_e32 v0, 0x3aee, v5
	v_add_f16_e32 v5, v7, v6
	v_fmamk_f16 v6, v4, 0x3aee, v2
	v_fmac_f16_e32 v2, 0xbaee, v4
	v_pack_b32_f16 v46, v3, v5
	v_add_f16_e32 v3, v48, v12
	s_delay_alu instid0(VALU_DEP_3) | instskip(SKIP_2) | instid1(VALU_DEP_4)
	v_pack_b32_f16 v0, v0, v2
	v_add_f16_e32 v2, v1, v10
	v_pack_b32_f16 v47, v8, v6
	v_add_f16_e32 v3, v3, v13
	s_delay_alu instid0(VALU_DEP_3) | instskip(NEXT) | instid1(VALU_DEP_1)
	v_add_f16_e32 v2, v2, v11
	v_pack_b32_f16 v49, v2, v3
	ds_load_2addr_b32 v[2:3], v185 offset0:14 offset1:149
	ds_load_2addr_b32 v[4:5], v153 offset0:28 offset1:163
	;; [unrolled: 1-line block ×4, first 2 shown]
	global_wb scope:SCOPE_SE
	s_wait_dscnt 0x0
	s_barrier_signal -1
	s_barrier_wait -1
	global_inv scope:SCOPE_SE
	ds_store_b32 v174, v47 offset:1800
	ds_store_b32 v174, v0 offset:3600
	ds_store_2addr_b32 v174, v46, v49 offset1:135
	v_add_f16_e32 v0, v10, v11
	s_delay_alu instid0(VALU_DEP_1) | instskip(SKIP_3) | instid1(VALU_DEP_3)
	v_fmac_f16_e32 v1, -0.5, v0
	v_add_f16_e32 v0, v12, v13
	v_sub_f16_e32 v12, v12, v13
	v_add_f16_e32 v13, v15, v17
	v_fmac_f16_e32 v48, -0.5, v0
	v_sub_f16_e32 v0, v10, v11
	s_delay_alu instid0(VALU_DEP_4) | instskip(SKIP_1) | instid1(VALU_DEP_3)
	v_fmamk_f16 v10, v12, 0xbaee, v1
	v_fmac_f16_e32 v1, 0x3aee, v12
	v_fmamk_f16 v11, v0, 0x3aee, v48
	v_fmac_f16_e32 v48, 0xbaee, v0
	s_delay_alu instid0(VALU_DEP_2) | instskip(NEXT) | instid1(VALU_DEP_2)
	v_pack_b32_f16 v10, v10, v11
	v_pack_b32_f16 v0, v1, v48
	v_lshrrev_b32_e32 v1, 16, v2
	s_delay_alu instid0(VALU_DEP_1) | instskip(SKIP_3) | instid1(VALU_DEP_4)
	v_add_f16_e32 v12, v1, v15
	v_sub_f16_e32 v15, v15, v17
	v_fmac_f16_e32 v1, -0.5, v13
	v_add_f16_e32 v13, v2, v14
	v_add_f16_e32 v12, v12, v17
	;; [unrolled: 1-line block ×3, first 2 shown]
	v_sub_f16_e32 v14, v14, v16
	s_delay_alu instid0(VALU_DEP_4) | instskip(NEXT) | instid1(VALU_DEP_3)
	v_add_f16_e32 v13, v13, v16
	v_fma_f16 v2, -0.5, v17, v2
	s_delay_alu instid0(VALU_DEP_2) | instskip(NEXT) | instid1(VALU_DEP_4)
	v_pack_b32_f16 v11, v13, v12
	v_fmamk_f16 v13, v14, 0x3aee, v1
	v_fmac_f16_e32 v1, 0xbaee, v14
	s_delay_alu instid0(VALU_DEP_4) | instskip(SKIP_1) | instid1(VALU_DEP_2)
	v_fmamk_f16 v12, v15, 0xbaee, v2
	v_fmac_f16_e32 v2, 0x3aee, v15
	v_pack_b32_f16 v12, v12, v13
	s_delay_alu instid0(VALU_DEP_2)
	v_pack_b32_f16 v1, v2, v1
	ds_store_b32 v174, v11 offset:1080
	ds_store_2addr_b32 v153, v10, v12 offset0:73 offset1:208
	v_add_f16_e32 v2, v3, v18
	ds_store_2addr_b32 v183, v0, v1 offset0:11 offset1:146
	v_add_f16_e32 v0, v18, v19
	v_lshrrev_b32_e32 v1, 16, v3
	v_add_f16_e32 v13, v5, v26
	s_delay_alu instid0(VALU_DEP_3) | instskip(SKIP_1) | instid1(VALU_DEP_4)
	v_fmac_f16_e32 v3, -0.5, v0
	v_sub_f16_e32 v0, v20, v21
	v_add_f16_e32 v11, v1, v20
	s_delay_alu instid0(VALU_DEP_2) | instskip(SKIP_2) | instid1(VALU_DEP_1)
	v_fmamk_f16 v10, v0, 0xbaee, v3
	v_fmac_f16_e32 v3, 0x3aee, v0
	v_add_f16_e32 v0, v20, v21
	v_fmac_f16_e32 v1, -0.5, v0
	v_sub_f16_e32 v0, v18, v19
	s_delay_alu instid0(VALU_DEP_1) | instskip(SKIP_1) | instid1(VALU_DEP_1)
	v_fmamk_f16 v12, v0, 0x3aee, v1
	v_fmac_f16_e32 v1, 0xbaee, v0
	v_pack_b32_f16 v0, v3, v1
	v_add_f16_e32 v1, v2, v19
	v_add_f16_e32 v2, v11, v21
	;; [unrolled: 1-line block ×3, first 2 shown]
	s_delay_alu instid0(VALU_DEP_2)
	v_pack_b32_f16 v1, v1, v2
	v_pack_b32_f16 v2, v10, v12
	ds_store_b32 v212, v1
	ds_store_b32 v212, v2 offset:1800
	ds_store_b32 v212, v0 offset:3600
	v_add_f16_e32 v0, v22, v24
	v_sub_f16_e32 v1, v23, v25
	v_lshrrev_b32_e32 v12, 16, v5
	s_delay_alu instid0(VALU_DEP_3) | instskip(NEXT) | instid1(VALU_DEP_2)
	v_fma_f16 v0, -0.5, v0, v4
	v_add_f16_e32 v15, v12, v28
	s_delay_alu instid0(VALU_DEP_2) | instskip(SKIP_2) | instid1(VALU_DEP_1)
	v_fmamk_f16 v2, v1, 0xbaee, v0
	v_fmac_f16_e32 v0, 0x3aee, v1
	v_lshrrev_b32_e32 v1, 16, v4
	v_add_f16_e32 v10, v1, v23
	v_fmac_f16_e32 v1, -0.5, v3
	v_sub_f16_e32 v3, v22, v24
	s_delay_alu instid0(VALU_DEP_1) | instskip(SKIP_2) | instid1(VALU_DEP_2)
	v_fmamk_f16 v11, v3, 0x3aee, v1
	v_fmac_f16_e32 v1, 0xbaee, v3
	v_add_f16_e32 v3, v26, v27
	v_pack_b32_f16 v0, v0, v1
	s_delay_alu instid0(VALU_DEP_2) | instskip(SKIP_1) | instid1(VALU_DEP_1)
	v_fmac_f16_e32 v5, -0.5, v3
	v_sub_f16_e32 v3, v28, v29
	v_fmamk_f16 v14, v3, 0xbaee, v5
	v_fmac_f16_e32 v5, 0x3aee, v3
	v_add_f16_e32 v3, v28, v29
	s_delay_alu instid0(VALU_DEP_1) | instskip(SKIP_1) | instid1(VALU_DEP_1)
	v_fmac_f16_e32 v12, -0.5, v3
	v_sub_f16_e32 v3, v26, v27
	v_fmamk_f16 v16, v3, 0x3aee, v12
	v_fmac_f16_e32 v12, 0xbaee, v3
	v_add_nc_u32_e32 v3, 0x2400, v174
	s_delay_alu instid0(VALU_DEP_2)
	v_pack_b32_f16 v1, v5, v12
	v_sub_f16_e32 v5, v31, v33
	ds_store_2addr_b32 v3, v0, v1 offset0:36 offset1:171
	v_add_f16_e32 v0, v4, v22
	v_add_f16_e32 v1, v10, v25
	;; [unrolled: 1-line block ×4, first 2 shown]
	v_sub_f16_e32 v10, v39, v41
	v_add_f16_e32 v0, v0, v24
	s_delay_alu instid0(VALU_DEP_1) | instskip(NEXT) | instid1(VALU_DEP_4)
	v_pack_b32_f16 v0, v0, v1
	v_pack_b32_f16 v1, v3, v4
	v_add_f16_e32 v3, v30, v32
	v_sub_f16_e32 v4, v30, v32
	ds_store_2addr_b32 v189, v0, v1 offset0:32 offset1:167
	v_pack_b32_f16 v0, v2, v11
	v_pack_b32_f16 v1, v14, v16
	v_fma_f16 v3, -0.5, v3, v6
	ds_store_2addr_b32 v182, v0, v1 offset0:98 offset1:233
	v_lshrrev_b32_e32 v0, 16, v6
	v_add_f16_e32 v1, v31, v33
	s_delay_alu instid0(VALU_DEP_2) | instskip(NEXT) | instid1(VALU_DEP_2)
	v_add_f16_e32 v2, v0, v31
	v_fmac_f16_e32 v0, -0.5, v1
	v_add_f16_e32 v1, v6, v30
	v_fmamk_f16 v6, v5, 0xbaee, v3
	v_fmac_f16_e32 v3, 0x3aee, v5
	v_add_f16_e32 v2, v2, v33
	v_fmamk_f16 v5, v4, 0x3aee, v0
	v_add_f16_e32 v1, v1, v32
	v_fmac_f16_e32 v0, 0xbaee, v4
	s_delay_alu instid0(VALU_DEP_2) | instskip(NEXT) | instid1(VALU_DEP_4)
	v_pack_b32_f16 v1, v1, v2
	v_pack_b32_f16 v2, v6, v5
	s_delay_alu instid0(VALU_DEP_3)
	v_pack_b32_f16 v0, v3, v0
	ds_store_b32 v241, v1
	ds_store_b32 v241, v2 offset:1800
	ds_store_b32 v241, v0 offset:3600
	v_add_f16_e32 v0, v34, v35
	v_lshrrev_b32_e32 v1, 16, v7
	v_add_f16_e32 v2, v7, v34
	v_lshrrev_b32_e32 v6, 16, v8
	s_delay_alu instid0(VALU_DEP_4) | instskip(SKIP_2) | instid1(VALU_DEP_2)
	v_fmac_f16_e32 v7, -0.5, v0
	v_sub_f16_e32 v0, v36, v37
	v_add_f16_e32 v4, v1, v36
	v_fmamk_f16 v3, v0, 0xbaee, v7
	v_fmac_f16_e32 v7, 0x3aee, v0
	v_add_f16_e32 v0, v36, v37
	s_delay_alu instid0(VALU_DEP_1) | instskip(SKIP_1) | instid1(VALU_DEP_1)
	v_fmac_f16_e32 v1, -0.5, v0
	v_sub_f16_e32 v0, v34, v35
	v_fmamk_f16 v5, v0, 0x3aee, v1
	v_fmac_f16_e32 v1, 0xbaee, v0
	s_delay_alu instid0(VALU_DEP_1) | instskip(SKIP_3) | instid1(VALU_DEP_2)
	v_pack_b32_f16 v0, v7, v1
	v_add_f16_e32 v1, v2, v35
	v_add_f16_e32 v2, v4, v37
	;; [unrolled: 1-line block ×3, first 2 shown]
	v_pack_b32_f16 v1, v1, v2
	v_pack_b32_f16 v2, v3, v5
	ds_store_b32 v231, v1 offset:10800
	ds_store_b32 v231, v2 offset:12600
	;; [unrolled: 1-line block ×3, first 2 shown]
	v_add_f16_e32 v0, v42, v43
	v_lshrrev_b32_e32 v1, 16, v9
	v_add_f16_e32 v2, v9, v42
	v_add_f16_e32 v7, v7, v40
	s_delay_alu instid0(VALU_DEP_4) | instskip(SKIP_2) | instid1(VALU_DEP_2)
	v_fmac_f16_e32 v9, -0.5, v0
	v_sub_f16_e32 v0, v44, v45
	v_add_f16_e32 v4, v1, v44
	v_fmamk_f16 v3, v0, 0xbaee, v9
	v_fmac_f16_e32 v9, 0x3aee, v0
	v_add_f16_e32 v0, v44, v45
	s_delay_alu instid0(VALU_DEP_1) | instskip(SKIP_1) | instid1(VALU_DEP_1)
	v_fmac_f16_e32 v1, -0.5, v0
	v_sub_f16_e32 v0, v42, v43
	v_fmamk_f16 v5, v0, 0x3aee, v1
	v_fmac_f16_e32 v1, 0xbaee, v0
	v_add_f16_e32 v0, v38, v40
	s_delay_alu instid0(VALU_DEP_2) | instskip(NEXT) | instid1(VALU_DEP_2)
	v_pack_b32_f16 v1, v9, v1
	v_fma_f16 v0, -0.5, v0, v8
	v_add_f16_e32 v8, v39, v41
	v_add_f16_e32 v9, v6, v39
	s_delay_alu instid0(VALU_DEP_3) | instskip(NEXT) | instid1(VALU_DEP_3)
	v_fmamk_f16 v11, v10, 0xbaee, v0
	v_fmac_f16_e32 v6, -0.5, v8
	v_sub_f16_e32 v8, v38, v40
	s_delay_alu instid0(VALU_DEP_4) | instskip(SKIP_1) | instid1(VALU_DEP_3)
	v_add_f16_e32 v9, v9, v41
	v_fmac_f16_e32 v0, 0x3aee, v10
	v_fmamk_f16 v10, v8, 0x3aee, v6
	v_fmac_f16_e32 v6, 0xbaee, v8
	s_delay_alu instid0(VALU_DEP_4) | instskip(NEXT) | instid1(VALU_DEP_3)
	v_pack_b32_f16 v7, v7, v9
	v_pack_b32_f16 v8, v11, v10
	s_delay_alu instid0(VALU_DEP_3)
	v_pack_b32_f16 v0, v0, v6
	ds_store_b32 v223, v7 offset:10800
	ds_store_b32 v223, v8 offset:12600
	;; [unrolled: 1-line block ×3, first 2 shown]
	v_add_f16_e32 v0, v2, v43
	v_add_f16_e32 v2, v4, v45
	s_delay_alu instid0(VALU_DEP_1)
	v_pack_b32_f16 v0, v0, v2
	v_pack_b32_f16 v2, v3, v5
	ds_store_b32 v224, v0 offset:10800
	ds_store_b32 v224, v2 offset:12600
	;; [unrolled: 1-line block ×3, first 2 shown]
	global_wb scope:SCOPE_SE
	s_wait_dscnt 0x0
	s_barrier_signal -1
	s_barrier_wait -1
	global_inv scope:SCOPE_SE
	ds_load_2addr_b32 v[0:1], v209 offset0:70 offset1:205
	ds_load_2addr_b32 v[29:30], v174 offset1:135
	s_wait_dscnt 0x1
	v_lshrrev_b32_e32 v2, 16, v0
	v_mul_f16_e64 v3, v227, v0
	s_wait_dscnt 0x0
	v_lshrrev_b32_e32 v48, 16, v30
	s_delay_alu instid0(VALU_DEP_3) | instskip(NEXT) | instid1(VALU_DEP_3)
	v_mul_f16_e64 v24, v227, v2
	v_fma_f16 v31, v203, v2, -v3
	ds_load_2addr_b32 v[2:3], v180 offset0:12 offset1:147
	v_fmac_f16_e64 v24, v203, v0
	v_lshrrev_b32_e32 v0, 16, v1
	s_delay_alu instid0(VALU_DEP_1) | instskip(NEXT) | instid1(VALU_DEP_1)
	v_mul_f16_e64 v35, v175, v0
	v_fmac_f16_e32 v35, v89, v1
	v_mul_f16_e64 v1, v175, v1
	s_wait_dscnt 0x0
	v_lshrrev_b32_e32 v4, 16, v2
	s_delay_alu instid0(VALU_DEP_2) | instskip(SKIP_3) | instid1(VALU_DEP_2)
	v_fma_f16 v37, v89, v0, -v1
	ds_load_2addr_b32 v[0:1], v178 offset0:84 offset1:219
	v_mul_f16_e64 v5, v171, v2
	v_mul_f16_e64 v32, v171, v4
	v_fma_f16 v33, v204, v4, -v5
	v_mul_f16_e64 v4, v172, v3
	s_delay_alu instid0(VALU_DEP_3) | instskip(SKIP_1) | instid1(VALU_DEP_1)
	v_fmac_f16_e64 v32, v204, v2
	v_lshrrev_b32_e32 v2, 16, v3
	v_mul_f16_e64 v36, v172, v2
	s_delay_alu instid0(VALU_DEP_4) | instskip(NEXT) | instid1(VALU_DEP_2)
	v_fma_f16 v38, v90, v2, -v4
	v_fmac_f16_e32 v36, v90, v3
	s_wait_dscnt 0x0
	v_lshrrev_b32_e32 v2, 16, v0
	v_mul_f16_e64 v3, v160, v0
	s_delay_alu instid0(VALU_DEP_2) | instskip(NEXT) | instid1(VALU_DEP_2)
	v_mul_f16_e64 v16, v160, v2
	v_fma_f16 v39, v87, v2, -v3
	ds_load_2addr_b32 v[2:3], v179 offset0:26 offset1:161
	v_fmac_f16_e32 v16, v87, v0
	v_lshrrev_b32_e32 v0, 16, v1
	s_delay_alu instid0(VALU_DEP_1) | instskip(NEXT) | instid1(VALU_DEP_1)
	v_mul_f16_e64 v20, v158, v0
	v_fmac_f16_e32 v20, v85, v1
	v_mul_f16_e64 v1, v158, v1
	s_wait_dscnt 0x0
	v_lshrrev_b32_e32 v4, 16, v2
	s_delay_alu instid0(VALU_DEP_2) | instskip(SKIP_3) | instid1(VALU_DEP_2)
	v_fma_f16 v40, v85, v0, -v1
	ds_load_2addr_b32 v[0:1], v182 offset0:98 offset1:233
	v_mul_f16_e64 v5, v169, v2
	v_mul_f16_e64 v21, v169, v4
	v_fma_f16 v23, v88, v4, -v5
	v_mul_f16_e64 v4, v159, v3
	s_delay_alu instid0(VALU_DEP_3) | instskip(SKIP_1) | instid1(VALU_DEP_1)
	v_fmac_f16_e32 v21, v88, v2
	v_lshrrev_b32_e32 v2, 16, v3
	v_mul_f16_e64 v25, v159, v2
	s_delay_alu instid0(VALU_DEP_4) | instskip(NEXT) | instid1(VALU_DEP_2)
	v_fma_f16 v41, v86, v2, -v4
	v_fmac_f16_e32 v25, v86, v3
	s_wait_dscnt 0x0
	v_lshrrev_b32_e32 v2, 16, v0
	v_mul_f16_e64 v3, v155, v0
	s_delay_alu instid0(VALU_DEP_2) | instskip(NEXT) | instid1(VALU_DEP_2)
	v_mul_f16_e64 v17, v155, v2
	v_fma_f16 v42, v99, v2, -v3
	ds_load_2addr_b32 v[2:3], v177 offset0:40 offset1:175
	v_fmac_f16_e32 v17, v99, v0
	v_lshrrev_b32_e32 v0, 16, v1
	s_delay_alu instid0(VALU_DEP_1) | instskip(NEXT) | instid1(VALU_DEP_1)
	v_mul_f16_e64 v27, v168, v0
	v_fmac_f16_e32 v27, v97, v1
	v_mul_f16_e64 v1, v168, v1
	s_wait_dscnt 0x0
	v_lshrrev_b32_e32 v4, 16, v2
	s_delay_alu instid0(VALU_DEP_2) | instskip(SKIP_3) | instid1(VALU_DEP_2)
	v_fma_f16 v43, v97, v0, -v1
	ds_load_2addr_b32 v[0:1], v148 offset0:112 offset1:247
	v_mul_f16_e64 v5, v156, v2
	v_mul_f16_e64 v18, v156, v4
	v_fma_f16 v19, v100, v4, -v5
	v_mul_f16_e64 v4, v157, v3
	s_delay_alu instid0(VALU_DEP_3) | instskip(SKIP_1) | instid1(VALU_DEP_1)
	v_fmac_f16_e32 v18, v100, v2
	v_lshrrev_b32_e32 v2, 16, v3
	v_mul_f16_e64 v26, v157, v2
	s_delay_alu instid0(VALU_DEP_4) | instskip(NEXT) | instid1(VALU_DEP_2)
	v_fma_f16 v44, v98, v2, -v4
	v_fmac_f16_e32 v26, v98, v3
	s_wait_dscnt 0x0
	v_lshrrev_b32_e32 v2, 16, v0
	v_mul_f16_e64 v3, v138, v0
	s_delay_alu instid0(VALU_DEP_2) | instskip(NEXT) | instid1(VALU_DEP_2)
	v_mul_f16_e64 v4, v138, v2
	v_fma_f16 v28, v151, v2, -v3
	ds_load_2addr_b32 v[2:3], v173 offset0:54 offset1:189
	v_fmac_f16_e64 v4, v151, v0
	v_lshrrev_b32_e32 v0, 16, v1
	s_delay_alu instid0(VALU_DEP_1) | instskip(NEXT) | instid1(VALU_DEP_1)
	v_mul_f16_e64 v22, v135, v0
	v_fmac_f16_e64 v22, v149, v1
	v_mul_f16_e64 v1, v135, v1
	s_wait_dscnt 0x0
	v_lshrrev_b32_e32 v6, 16, v2
	s_delay_alu instid0(VALU_DEP_2) | instskip(SKIP_4) | instid1(VALU_DEP_3)
	v_fma_f16 v45, v149, v0, -v1
	ds_load_2addr_b32 v[0:1], v170 offset0:62 offset1:197
	v_mul_f16_e32 v7, v96, v2
	v_mul_f16_e64 v8, v137, v3
	v_mul_f16_e32 v5, v96, v6
	v_fma_f16 v6, v152, v6, -v7
	s_delay_alu instid0(VALU_DEP_2) | instskip(SKIP_1) | instid1(VALU_DEP_1)
	v_fmac_f16_e64 v5, v152, v2
	v_lshrrev_b32_e32 v2, 16, v3
	v_mul_f16_e64 v7, v137, v2
	v_fma_f16 v11, v150, v2, -v8
	s_delay_alu instid0(VALU_DEP_2) | instskip(SKIP_3) | instid1(VALU_DEP_2)
	v_fmac_f16_e64 v7, v150, v3
	s_wait_dscnt 0x0
	v_lshrrev_b32_e32 v2, 16, v0
	v_mul_f16_e64 v3, v133, v0
	v_mul_f16_e64 v9, v133, v2
	s_delay_alu instid0(VALU_DEP_2) | instskip(SKIP_3) | instid1(VALU_DEP_1)
	v_fma_f16 v46, v103, v2, -v3
	ds_load_2addr_b32 v[2:3], v165 offset0:68 offset1:203
	v_fmac_f16_e32 v9, v103, v0
	v_lshrrev_b32_e32 v0, 16, v1
	v_mul_f16_e32 v13, v91, v0
	s_delay_alu instid0(VALU_DEP_1)
	v_fmac_f16_e32 v13, v101, v1
	v_mul_f16_e32 v1, v91, v1
	s_wait_dscnt 0x0
	v_lshrrev_b32_e32 v10, 16, v2
	v_mul_f16_e64 v12, v134, v2
	v_mul_f16_e64 v14, v132, v3
	v_fma_f16 v15, v101, v0, -v1
	v_lshrrev_b32_e32 v0, 16, v29
	v_mul_f16_e64 v8, v134, v10
	v_fma_f16 v10, v104, v10, -v12
	v_add_f16_e32 v1, v31, v33
	s_delay_alu instid0(VALU_DEP_3) | instskip(SKIP_1) | instid1(VALU_DEP_1)
	v_fmac_f16_e32 v8, v104, v2
	v_lshrrev_b32_e32 v2, 16, v3
	v_mul_f16_e64 v12, v132, v2
	v_fma_f16 v14, v102, v2, -v14
	v_add_f16_e32 v2, v0, v31
	v_fmac_f16_e32 v0, -0.5, v1
	v_add_f16_e32 v1, v29, v24
	v_fmac_f16_e32 v12, v102, v3
	v_add_f16_e32 v3, v24, v32
	v_sub_f16_e32 v24, v24, v32
	v_add_f16_e32 v2, v2, v33
	v_add_f16_e32 v1, v1, v32
	s_delay_alu instid0(VALU_DEP_4) | instskip(SKIP_1) | instid1(VALU_DEP_1)
	v_fma_f16 v3, -0.5, v3, v29
	v_sub_f16_e32 v29, v31, v33
	v_fmamk_f16 v31, v29, 0xbaee, v3
	v_fmac_f16_e32 v3, 0x3aee, v29
	v_fmamk_f16 v29, v24, 0x3aee, v0
	v_fmac_f16_e32 v0, 0xbaee, v24
	v_pack_b32_f16 v24, v1, v2
	v_add_f16_e32 v1, v48, v37
	s_delay_alu instid0(VALU_DEP_4) | instskip(NEXT) | instid1(VALU_DEP_4)
	v_pack_b32_f16 v29, v31, v29
	v_pack_b32_f16 v47, v3, v0
	v_add_f16_e32 v0, v30, v35
	s_delay_alu instid0(VALU_DEP_4) | instskip(NEXT) | instid1(VALU_DEP_2)
	v_add_f16_e32 v1, v1, v38
	v_add_f16_e32 v0, v0, v36
	s_delay_alu instid0(VALU_DEP_1)
	v_pack_b32_f16 v49, v0, v1
	ds_load_2addr_b32 v[31:32], v185 offset0:14 offset1:149
	ds_load_2addr_b32 v[33:34], v153 offset0:28 offset1:163
	;; [unrolled: 1-line block ×4, first 2 shown]
	ds_store_b32 v174, v29 offset:5400
	ds_store_b32 v174, v47 offset:10800
	ds_store_2addr_b32 v174, v24, v49 offset1:135
	v_add_f16_e32 v24, v35, v36
	v_sub_f16_e32 v29, v37, v38
	v_sub_f16_e32 v47, v16, v21
	s_delay_alu instid0(VALU_DEP_3) | instskip(SKIP_1) | instid1(VALU_DEP_1)
	v_fmac_f16_e32 v30, -0.5, v24
	v_add_f16_e32 v24, v37, v38
	v_fmac_f16_e32 v48, -0.5, v24
	v_sub_f16_e32 v24, v35, v36
	v_add_f16_e32 v36, v39, v23
	s_wait_dscnt 0x6
	v_lshrrev_b32_e32 v35, 16, v31
	s_delay_alu instid0(VALU_DEP_3) | instskip(SKIP_1) | instid1(VALU_DEP_3)
	v_fmamk_f16 v38, v24, 0x3aee, v48
	v_fmac_f16_e32 v48, 0xbaee, v24
	v_add_f16_e32 v37, v35, v39
	v_fmac_f16_e32 v35, -0.5, v36
	v_fmamk_f16 v36, v29, 0xbaee, v30
	v_sub_f16_e32 v39, v39, v23
	v_fmac_f16_e32 v30, 0x3aee, v29
	s_delay_alu instid0(VALU_DEP_4) | instskip(NEXT) | instid1(VALU_DEP_4)
	v_fmamk_f16 v50, v47, 0x3aee, v35
	v_pack_b32_f16 v36, v36, v38
	v_add_f16_e32 v38, v16, v21
	v_fmac_f16_e32 v35, 0xbaee, v47
	v_add_f16_e32 v16, v31, v16
	v_pack_b32_f16 v24, v30, v48
	v_add_nc_u32_e32 v30, 0x2c00, v174
	v_fma_f16 v38, -0.5, v38, v31
	v_sub_f16_e32 v31, v17, v18
	v_add_f16_e32 v16, v16, v21
	v_add_f16_e32 v21, v37, v23
	v_lshrrev_b32_e32 v23, 16, v32
	v_fmamk_f16 v49, v39, 0xbaee, v38
	v_fmac_f16_e32 v38, 0x3aee, v39
	s_delay_alu instid0(VALU_DEP_4) | instskip(SKIP_1) | instid1(VALU_DEP_4)
	v_pack_b32_f16 v16, v16, v21
	v_add_f16_e32 v21, v32, v20
	v_pack_b32_f16 v49, v49, v50
	s_delay_alu instid0(VALU_DEP_4) | instskip(NEXT) | instid1(VALU_DEP_3)
	v_pack_b32_f16 v29, v38, v35
	v_add_f16_e32 v21, v21, v25
	ds_store_2addr_b32 v189, v36, v49 offset0:77 offset1:212
	ds_store_2addr_b32 v30, v24, v29 offset0:19 offset1:154
	v_add_f16_e32 v24, v23, v40
	v_sub_f16_e32 v30, v42, v19
	s_delay_alu instid0(VALU_DEP_2) | instskip(NEXT) | instid1(VALU_DEP_1)
	v_add_f16_e32 v24, v24, v41
	v_pack_b32_f16 v21, v21, v24
	v_add_f16_e32 v24, v42, v19
	ds_store_2addr_b32 v185, v16, v21 offset0:14 offset1:149
	v_add_f16_e32 v16, v20, v25
	v_sub_f16_e32 v21, v40, v41
	s_delay_alu instid0(VALU_DEP_2) | instskip(SKIP_1) | instid1(VALU_DEP_1)
	v_fmac_f16_e32 v32, -0.5, v16
	v_add_f16_e32 v16, v40, v41
	v_fmac_f16_e32 v23, -0.5, v16
	v_sub_f16_e32 v16, v20, v25
	s_wait_dscnt 0x8
	v_lshrrev_b32_e32 v20, 16, v33
	s_delay_alu instid0(VALU_DEP_2) | instskip(NEXT) | instid1(VALU_DEP_2)
	v_fmamk_f16 v29, v16, 0x3aee, v23
	v_add_f16_e32 v25, v20, v42
	v_fmac_f16_e32 v20, -0.5, v24
	v_fmamk_f16 v24, v21, 0xbaee, v32
	v_fmac_f16_e32 v32, 0x3aee, v21
	v_fmac_f16_e32 v23, 0xbaee, v16
	v_add_nc_u32_e32 v21, 0x3000, v174
	v_fmamk_f16 v36, v31, 0x3aee, v20
	v_pack_b32_f16 v24, v24, v29
	v_add_f16_e32 v29, v17, v18
	v_fmac_f16_e32 v20, 0xbaee, v31
	v_pack_b32_f16 v16, v32, v23
	s_delay_alu instid0(VALU_DEP_3) | instskip(NEXT) | instid1(VALU_DEP_1)
	v_fma_f16 v29, -0.5, v29, v33
	v_fmamk_f16 v35, v30, 0xbaee, v29
	v_fmac_f16_e32 v29, 0x3aee, v30
	v_sub_f16_e32 v30, v22, v7
	s_delay_alu instid0(VALU_DEP_3) | instskip(NEXT) | instid1(VALU_DEP_3)
	v_pack_b32_f16 v35, v35, v36
	v_pack_b32_f16 v20, v29, v20
	v_add_nc_u32_e32 v36, 0x1a00, v174
	v_sub_f16_e32 v29, v45, v11
	ds_store_2addr_b32 v21, v16, v20 offset0:33 offset1:168
	v_add_f16_e32 v16, v27, v26
	v_lshrrev_b32_e32 v20, 16, v34
	v_add_f16_e32 v21, v34, v27
	ds_store_2addr_b32 v36, v24, v35 offset0:91 offset1:226
	v_fmac_f16_e32 v34, -0.5, v16
	v_add_f16_e32 v16, v43, v44
	v_add_f16_e32 v23, v20, v43
	s_delay_alu instid0(VALU_DEP_2) | instskip(SKIP_1) | instid1(VALU_DEP_1)
	v_fmac_f16_e32 v20, -0.5, v16
	v_sub_f16_e32 v16, v43, v44
	v_fmamk_f16 v24, v16, 0xbaee, v34
	v_fmac_f16_e32 v34, 0x3aee, v16
	v_sub_f16_e32 v16, v27, v26
	s_delay_alu instid0(VALU_DEP_1) | instskip(SKIP_4) | instid1(VALU_DEP_4)
	v_fmamk_f16 v27, v16, 0x3aee, v20
	v_fmac_f16_e32 v20, 0xbaee, v16
	v_add_f16_e32 v16, v33, v17
	v_add_f16_e32 v17, v25, v19
	;; [unrolled: 1-line block ×3, first 2 shown]
	v_pack_b32_f16 v20, v34, v20
	s_delay_alu instid0(VALU_DEP_4)
	v_add_f16_e32 v16, v16, v18
	v_add_f16_e32 v18, v21, v26
	v_pack_b32_f16 v21, v24, v27
	s_wait_dscnt 0x9
	v_lshrrev_b32_e32 v26, 16, v3
	v_add_f16_e32 v27, v3, v22
	v_pack_b32_f16 v16, v16, v17
	v_pack_b32_f16 v17, v18, v19
	v_sub_f16_e32 v18, v28, v6
	v_sub_f16_e32 v19, v4, v5
	ds_store_2addr_b32 v153, v16, v17 offset0:28 offset1:163
	v_lshrrev_b32_e32 v16, 16, v2
	v_add_f16_e32 v17, v28, v6
	ds_store_b32 v174, v20 offset:13500
	v_add_nc_u32_e32 v20, 0x1e00, v174
	v_add_f16_e32 v25, v16, v28
	v_fmac_f16_e32 v16, -0.5, v17
	v_add_f16_e32 v17, v4, v5
	v_add_f16_e32 v28, v26, v45
	s_delay_alu instid0(VALU_DEP_3) | instskip(NEXT) | instid1(VALU_DEP_3)
	v_fmamk_f16 v24, v19, 0x3aee, v16
	v_fma_f16 v17, -0.5, v17, v2
	v_add_f16_e32 v2, v2, v4
	v_add_f16_e32 v4, v25, v6
	;; [unrolled: 1-line block ×3, first 2 shown]
	v_fmac_f16_e32 v16, 0xbaee, v19
	v_fmamk_f16 v23, v18, 0xbaee, v17
	v_add_f16_e32 v2, v2, v5
	v_add_f16_e32 v5, v27, v7
	v_fmac_f16_e32 v17, 0x3aee, v18
	s_delay_alu instid0(VALU_DEP_4)
	v_pack_b32_f16 v23, v23, v24
	v_sub_f16_e32 v24, v9, v8
	v_pack_b32_f16 v2, v2, v4
	v_pack_b32_f16 v4, v5, v6
	s_wait_dscnt 0xa
	v_add_f16_e32 v5, v1, v13
	ds_store_2addr_b32 v20, v21, v23 offset0:105 offset1:240
	v_add_f16_e32 v20, v22, v7
	v_add_f16_e32 v23, v46, v10
	ds_store_2addr_b32 v181, v2, v4 offset0:42 offset1:177
	v_lshrrev_b32_e32 v4, 16, v1
	v_fmac_f16_e32 v3, -0.5, v20
	v_add_f16_e32 v20, v45, v11
	s_delay_alu instid0(VALU_DEP_3) | instskip(NEXT) | instid1(VALU_DEP_3)
	v_add_f16_e32 v6, v4, v15
	v_fmamk_f16 v22, v29, 0xbaee, v3
	s_delay_alu instid0(VALU_DEP_3) | instskip(SKIP_2) | instid1(VALU_DEP_2)
	v_fmac_f16_e32 v26, -0.5, v20
	v_lshrrev_b32_e32 v20, 16, v0
	v_fmac_f16_e32 v3, 0x3aee, v29
	v_add_f16_e32 v21, v20, v46
	v_fmac_f16_e32 v20, -0.5, v23
	v_fmamk_f16 v23, v30, 0x3aee, v26
	v_fmac_f16_e32 v26, 0xbaee, v30
	s_delay_alu instid0(VALU_DEP_3) | instskip(NEXT) | instid1(VALU_DEP_3)
	v_fmamk_f16 v33, v24, 0x3aee, v20
	v_pack_b32_f16 v31, v22, v23
	v_add_f16_e32 v22, v9, v8
	v_sub_f16_e32 v23, v46, v10
	v_pack_b32_f16 v2, v3, v26
	v_add_f16_e32 v3, v13, v12
	v_fmac_f16_e32 v20, 0xbaee, v24
	v_fma_f16 v22, -0.5, v22, v0
	v_add_f16_e32 v0, v0, v9
	s_delay_alu instid0(VALU_DEP_4) | instskip(SKIP_1) | instid1(VALU_DEP_4)
	v_fmac_f16_e32 v1, -0.5, v3
	v_add_f16_e32 v3, v15, v14
	v_fmamk_f16 v32, v23, 0xbaee, v22
	s_delay_alu instid0(VALU_DEP_4) | instskip(SKIP_1) | instid1(VALU_DEP_4)
	v_add_f16_e32 v0, v0, v8
	v_fmac_f16_e32 v22, 0x3aee, v23
	v_fmac_f16_e32 v4, -0.5, v3
	s_delay_alu instid0(VALU_DEP_4)
	v_pack_b32_f16 v32, v32, v33
	v_add_nc_u32_e32 v33, 0x2200, v174
	v_sub_f16_e32 v3, v15, v14
	ds_store_2addr_b32 v33, v31, v32 offset0:119 offset1:254
	scratch_load_b64 v[33:34], off, off offset:216 th:TH_LOAD_LU ; 8-byte Folded Reload
	v_fmamk_f16 v7, v3, 0xbaee, v1
	v_fmac_f16_e32 v1, 0x3aee, v3
	v_sub_f16_e32 v3, v13, v12
	s_delay_alu instid0(VALU_DEP_1) | instskip(SKIP_2) | instid1(VALU_DEP_2)
	v_fmamk_f16 v11, v3, 0x3aee, v4
	v_fmac_f16_e32 v4, 0xbaee, v3
	v_pack_b32_f16 v3, v17, v16
	v_pack_b32_f16 v1, v1, v4
	ds_store_2addr_b32 v173, v3, v2 offset0:54 offset1:189
	v_add_f16_e32 v2, v21, v10
	v_add_f16_e32 v3, v5, v12
	v_add_f16_e32 v4, v6, v14
	s_delay_alu instid0(VALU_DEP_3) | instskip(NEXT) | instid1(VALU_DEP_2)
	v_pack_b32_f16 v0, v0, v2
	v_pack_b32_f16 v2, v3, v4
	ds_store_2addr_b32 v183, v0, v2 offset0:56 offset1:191
	v_pack_b32_f16 v0, v22, v20
	ds_store_2addr_b32 v165, v0, v1 offset0:68 offset1:203
	v_pack_b32_f16 v0, v7, v11
	ds_store_b32 v174, v0 offset:10260
	global_wb scope:SCOPE_SE
	s_wait_loadcnt_dscnt 0x0
	s_barrier_signal -1
	s_barrier_wait -1
	global_inv scope:SCOPE_SE
	s_clause 0x3
	scratch_load_b32 v23, off, off offset:240 th:TH_LOAD_LU
	scratch_load_b32 v24, off, off offset:244 th:TH_LOAD_LU
	;; [unrolled: 1-line block ×4, first 2 shown]
	ds_load_2addr_b32 v[1:2], v174 offset1:135
	ds_load_2addr_b32 v[8:9], v185 offset0:14 offset1:149
	s_clause 0x5
	scratch_load_b32 v30, off, off offset:200 th:TH_LOAD_LU
	scratch_load_b32 v37, off, off offset:180 th:TH_LOAD_LU
	;; [unrolled: 1-line block ×6, first 2 shown]
	s_wait_dscnt 0x1
	v_lshrrev_b32_e32 v0, 16, v1
	s_wait_dscnt 0x0
	v_lshrrev_b32_e32 v16, 16, v9
	v_mad_co_u64_u32 v[31:32], null, s10, v33, 0
	s_delay_alu instid0(VALU_DEP_1) | instskip(SKIP_3) | instid1(VALU_DEP_2)
	v_mad_co_u64_u32 v[32:33], null, s11, v33, v[32:33]
	v_mad_co_u64_u32 v[33:34], null, s8, v176, 0
	s_mov_b32 s10, 0xc0898b71
	s_mov_b32 s11, 0x3f302e85
	v_lshlrev_b64_e32 v[31:32], 2, v[31:32]
	s_delay_alu instid0(VALU_DEP_2) | instskip(NEXT) | instid1(VALU_DEP_2)
	v_mad_co_u64_u32 v[34:35], null, s9, v176, v[34:35]
	v_add_co_u32 v35, vcc_lo, s0, v31
	s_wait_alu 0xfffd
	s_delay_alu instid0(VALU_DEP_3) | instskip(NEXT) | instid1(VALU_DEP_3)
	v_add_co_ci_u32_e32 v36, vcc_lo, s1, v32, vcc_lo
	v_lshlrev_b64_e32 v[31:32], 2, v[33:34]
	s_clause 0x1
	scratch_load_b32 v34, off, off offset:224 th:TH_LOAD_LU
	scratch_load_b32 v33, off, off offset:212 th:TH_LOAD_LU
	v_add_co_u32 v31, vcc_lo, v35, v31
	scratch_load_b32 v35, off, off offset:228 th:TH_LOAD_LU ; 4-byte Folded Reload
	s_wait_alu 0xfffd
	v_add_co_ci_u32_e32 v32, vcc_lo, v36, v32, vcc_lo
	s_wait_loadcnt 0xc
	v_mul_f16_e32 v3, v23, v1
	s_wait_loadcnt 0xb
	s_delay_alu instid0(VALU_DEP_1) | instskip(SKIP_1) | instid1(VALU_DEP_2)
	v_fma_f16 v3, v24, v0, -v3
	v_mul_f16_e32 v0, v23, v0
	v_cvt_f32_f16_e32 v3, v3
	s_delay_alu instid0(VALU_DEP_2) | instskip(NEXT) | instid1(VALU_DEP_2)
	v_fmac_f16_e32 v0, v24, v1
	v_cvt_f64_f32_e32 v[3:4], v3
	s_delay_alu instid0(VALU_DEP_2) | instskip(NEXT) | instid1(VALU_DEP_1)
	v_cvt_f32_f16_e32 v0, v0
	v_cvt_f64_f32_e32 v[0:1], v0
	s_wait_alu 0xfffe
	s_delay_alu instid0(VALU_DEP_3) | instskip(NEXT) | instid1(VALU_DEP_2)
	v_mul_f64_e32 v[5:6], s[10:11], v[3:4]
	v_mul_f64_e32 v[0:1], s[10:11], v[0:1]
	s_delay_alu instid0(VALU_DEP_2) | instskip(SKIP_3) | instid1(VALU_DEP_4)
	v_and_or_b32 v3, 0x1ff, v6, v5
	v_lshrrev_b32_e32 v4, 8, v6
	v_bfe_u32 v10, v6, 20, 11
	v_lshrrev_b32_e32 v6, 16, v6
	v_cmp_ne_u32_e32 vcc_lo, 0, v3
	v_and_or_b32 v0, 0x1ff, v1, v0
	s_wait_alu 0xfffd
	v_cndmask_b32_e64 v3, 0, 1, vcc_lo
	s_delay_alu instid0(VALU_DEP_2) | instskip(NEXT) | instid1(VALU_DEP_2)
	v_cmp_ne_u32_e64 s2, 0, v0
	v_and_or_b32 v7, 0xffe, v4, v3
	v_sub_nc_u32_e32 v3, 0x3f1, v10
	s_wait_alu 0xf1ff
	s_delay_alu instid0(VALU_DEP_3) | instskip(NEXT) | instid1(VALU_DEP_3)
	v_cndmask_b32_e64 v0, 0, 1, s2
	v_or_b32_e32 v4, 0x1000, v7
	s_delay_alu instid0(VALU_DEP_3) | instskip(NEXT) | instid1(VALU_DEP_1)
	v_med3_i32 v3, v3, 0, 13
	v_lshrrev_b32_e32 v14, v3, v4
	s_delay_alu instid0(VALU_DEP_1) | instskip(NEXT) | instid1(VALU_DEP_1)
	v_lshlrev_b32_e32 v3, v3, v14
	v_cmp_ne_u32_e64 s1, v3, v4
	s_wait_loadcnt 0xa
	v_mul_f16_e32 v3, v25, v9
	s_wait_loadcnt 0x9
	s_delay_alu instid0(VALU_DEP_1) | instskip(NEXT) | instid1(VALU_DEP_1)
	v_fma_f16 v3, v26, v16, -v3
	v_cvt_f32_f16_e32 v3, v3
	s_delay_alu instid0(VALU_DEP_1) | instskip(NEXT) | instid1(VALU_DEP_1)
	v_cvt_f64_f32_e32 v[3:4], v3
	v_mul_f64_e32 v[12:13], s[10:11], v[3:4]
	s_delay_alu instid0(VALU_DEP_1)
	v_and_or_b32 v3, 0x1ff, v13, v12
	v_lshrrev_b32_e32 v4, 8, v13
	v_bfe_u32 v19, v13, 20, 11
	ds_load_2addr_b32 v[11:12], v181 offset0:42 offset1:177
	v_cmp_ne_u32_e32 vcc_lo, 0, v3
	s_wait_alu 0xfffd
	v_cndmask_b32_e64 v3, 0, 1, vcc_lo
	s_delay_alu instid0(VALU_DEP_1) | instskip(SKIP_1) | instid1(VALU_DEP_2)
	v_and_or_b32 v18, 0xffe, v4, v3
	v_sub_nc_u32_e32 v3, 0x3f1, v19
	v_or_b32_e32 v4, 0x1000, v18
	s_delay_alu instid0(VALU_DEP_2) | instskip(SKIP_2) | instid1(VALU_DEP_2)
	v_med3_i32 v3, v3, 0, 13
	s_wait_dscnt 0x0
	v_lshrrev_b32_e32 v17, 16, v11
	v_lshrrev_b32_e32 v20, v3, v4
	s_delay_alu instid0(VALU_DEP_1) | instskip(NEXT) | instid1(VALU_DEP_1)
	v_lshlrev_b32_e32 v3, v3, v20
	v_cmp_ne_u32_e64 s0, v3, v4
	s_wait_loadcnt 0x2
	v_mul_f16_e32 v3, v34, v11
	s_wait_loadcnt 0x0
	s_delay_alu instid0(VALU_DEP_1)
	v_fma_f16 v3, v35, v17, -v3
	v_mul_f16_e32 v17, v34, v17
	scratch_load_b32 v34, off, off offset:188 th:TH_LOAD_LU ; 4-byte Folded Reload
	v_cvt_f32_f16_e32 v3, v3
	v_fmac_f16_e32 v17, v35, v11
	scratch_load_b32 v35, off, off offset:196 th:TH_LOAD_LU ; 4-byte Folded Reload
	v_cvt_f64_f32_e32 v[3:4], v3
	v_cvt_f32_f16_e32 v11, v17
	s_delay_alu instid0(VALU_DEP_2) | instskip(NEXT) | instid1(VALU_DEP_1)
	v_mul_f64_e32 v[3:4], s[10:11], v[3:4]
	v_and_or_b32 v3, 0x1ff, v4, v3
	v_lshrrev_b32_e32 v5, 8, v4
	s_delay_alu instid0(VALU_DEP_2) | instskip(SKIP_2) | instid1(VALU_DEP_1)
	v_cmp_ne_u32_e32 vcc_lo, 0, v3
	s_wait_alu 0xfffd
	v_cndmask_b32_e64 v3, 0, 1, vcc_lo
	v_and_or_b32 v3, 0xffe, v5, v3
	v_bfe_u32 v5, v4, 20, 11
	v_lshrrev_b32_e32 v4, 16, v4
	s_delay_alu instid0(VALU_DEP_3) | instskip(NEXT) | instid1(VALU_DEP_3)
	v_or_b32_e32 v22, 0x1000, v3
	v_sub_nc_u32_e32 v15, 0x3f1, v5
	v_add_nc_u32_e32 v5, 0xfffffc10, v5
	s_delay_alu instid0(VALU_DEP_2) | instskip(NEXT) | instid1(VALU_DEP_1)
	v_med3_i32 v21, v15, 0, 13
	v_lshrrev_b32_e32 v15, v21, v22
	s_delay_alu instid0(VALU_DEP_1) | instskip(NEXT) | instid1(VALU_DEP_1)
	v_lshlrev_b32_e32 v21, v21, v15
	v_cmp_ne_u32_e32 vcc_lo, v21, v22
	v_lshrrev_b32_e32 v21, 8, v1
	s_delay_alu instid0(VALU_DEP_1) | instskip(SKIP_2) | instid1(VALU_DEP_3)
	v_and_or_b32 v0, 0xffe, v21, v0
	v_bfe_u32 v21, v1, 20, 11
	v_lshrrev_b32_e32 v1, 16, v1
	v_or_b32_e32 v23, 0x1000, v0
	s_delay_alu instid0(VALU_DEP_3) | instskip(SKIP_1) | instid1(VALU_DEP_2)
	v_sub_nc_u32_e32 v22, 0x3f1, v21
	v_add_nc_u32_e32 v21, 0xfffffc10, v21
	v_med3_i32 v22, v22, 0, 13
	s_delay_alu instid0(VALU_DEP_1) | instskip(NEXT) | instid1(VALU_DEP_1)
	v_lshrrev_b32_e32 v24, v22, v23
	v_lshlrev_b32_e32 v22, v22, v24
	s_delay_alu instid0(VALU_DEP_1) | instskip(SKIP_2) | instid1(VALU_DEP_2)
	v_cmp_ne_u32_e64 s2, v22, v23
	v_lshl_or_b32 v23, v21, 12, v0
	s_wait_alu 0xf1ff
	v_cndmask_b32_e64 v22, 0, 1, s2
	v_cmp_gt_i32_e64 s2, 1, v21
	s_delay_alu instid0(VALU_DEP_2) | instskip(SKIP_1) | instid1(VALU_DEP_1)
	v_or_b32_e32 v22, v24, v22
	s_wait_alu 0xf1ff
	v_cndmask_b32_e64 v22, v23, v22, s2
	s_delay_alu instid0(VALU_DEP_1) | instskip(NEXT) | instid1(VALU_DEP_1)
	v_and_b32_e32 v23, 7, v22
	v_cmp_lt_i32_e64 s2, 5, v23
	v_cmp_eq_u32_e64 s3, 3, v23
	v_cndmask_b32_e64 v23, 0, 1, s1
	v_cmp_ne_u32_e64 s1, 0, v0
	v_add_nc_u32_e32 v0, 0xfffffc10, v10
	s_delay_alu instid0(VALU_DEP_4) | instskip(NEXT) | instid1(VALU_DEP_3)
	s_or_b32 s2, s3, s2
	v_or_b32_e32 v14, v14, v23
	v_cmp_ne_u32_e64 s3, 0, v7
	s_delay_alu instid0(VALU_DEP_3) | instskip(SKIP_1) | instid1(VALU_DEP_1)
	v_lshl_or_b32 v10, v0, 12, v7
	v_cmp_gt_i32_e64 s4, 1, v0
	v_cndmask_b32_e64 v10, v10, v14, s4
	v_lshrrev_b32_e32 v14, 2, v22
	v_cndmask_b32_e64 v22, 0, 1, s1
	v_cmp_eq_u32_e64 s1, 0x40f, v21
	v_cmp_gt_i32_e64 s4, 1, v5
	v_lshrrev_b32_e32 v7, 2, v10
	s_wait_alu 0xfffe
	v_add_co_ci_u32_e64 v14, s2, 0, v14, s2
	v_cmp_gt_i32_e64 s2, 31, v21
	v_lshl_or_b32 v22, v22, 9, 0x7c00
	v_and_b32_e32 v21, 7, v10
	s_wait_alu 0xf1ff
	v_cndmask_b32_e64 v10, 0, 1, s3
	v_cndmask_b32_e64 v14, 0x7c00, v14, s2
	s_delay_alu instid0(VALU_DEP_3) | instskip(NEXT) | instid1(VALU_DEP_3)
	v_cmp_eq_u32_e64 s2, 3, v21
	v_lshl_or_b32 v10, v10, 9, 0x7c00
	s_delay_alu instid0(VALU_DEP_3) | instskip(SKIP_1) | instid1(VALU_DEP_2)
	v_cndmask_b32_e64 v14, v14, v22, s1
	v_cmp_lt_i32_e64 s1, 5, v21
	v_and_or_b32 v1, 0x8000, v1, v14
	s_delay_alu instid0(VALU_DEP_2)
	s_or_b32 s1, s2, s1
	s_wait_alu 0xfffe
	v_add_co_ci_u32_e64 v7, s1, 0, v7, s1
	v_cmp_gt_i32_e64 s1, 31, v0
	v_and_b32_e32 v1, 0xffff, v1
	s_wait_alu 0xf1ff
	s_delay_alu instid0(VALU_DEP_2) | instskip(SKIP_2) | instid1(VALU_DEP_1)
	v_cndmask_b32_e64 v7, 0x7c00, v7, s1
	v_cmp_eq_u32_e64 s1, 0x40f, v0
	s_wait_alu 0xf1ff
	v_cndmask_b32_e64 v0, v7, v10, s1
	s_delay_alu instid0(VALU_DEP_1) | instskip(SKIP_1) | instid1(VALU_DEP_2)
	v_and_or_b32 v0, 0x8000, v6, v0
	v_mul_f16_e32 v6, v25, v16
	v_lshl_or_b32 v0, v0, 16, v1
	s_delay_alu instid0(VALU_DEP_2)
	v_fmac_f16_e32 v6, v26, v9
	scratch_load_b32 v26, off, off offset:208 th:TH_LOAD_LU ; 4-byte Folded Reload
	global_store_b32 v[31:32], v0, off
	v_cvt_f32_f16_e32 v6, v6
	v_add_co_u32 v0, s1, v31, s12
	s_wait_alu 0xf1ff
	v_add_co_ci_u32_e64 v1, s1, s13, v32, s1
	s_delay_alu instid0(VALU_DEP_3) | instskip(SKIP_4) | instid1(VALU_DEP_1)
	v_cvt_f64_f32_e32 v[6:7], v6
	s_clause 0x1
	scratch_load_b32 v32, off, off offset:204 th:TH_LOAD_LU
	scratch_load_b32 v31, off, off offset:192 th:TH_LOAD_LU
	v_mul_f64_e32 v[6:7], s[10:11], v[6:7]
	v_and_or_b32 v6, 0x1ff, v7, v6
	v_lshrrev_b32_e32 v9, 8, v7
	s_delay_alu instid0(VALU_DEP_2) | instskip(SKIP_1) | instid1(VALU_DEP_1)
	v_cmp_ne_u32_e64 s1, 0, v6
	s_wait_alu 0xf1ff
	v_cndmask_b32_e64 v6, 0, 1, s1
	s_delay_alu instid0(VALU_DEP_1) | instskip(SKIP_2) | instid1(VALU_DEP_3)
	v_and_or_b32 v6, 0xffe, v9, v6
	v_bfe_u32 v9, v7, 20, 11
	v_lshrrev_b32_e32 v7, 16, v7
	v_or_b32_e32 v14, 0x1000, v6
	s_delay_alu instid0(VALU_DEP_3) | instskip(SKIP_1) | instid1(VALU_DEP_2)
	v_sub_nc_u32_e32 v10, 0x3f1, v9
	v_add_nc_u32_e32 v9, 0xfffffc10, v9
	v_med3_i32 v10, v10, 0, 13
	s_delay_alu instid0(VALU_DEP_1) | instskip(NEXT) | instid1(VALU_DEP_1)
	v_lshrrev_b32_e32 v16, v10, v14
	v_lshlrev_b32_e32 v10, v10, v16
	s_delay_alu instid0(VALU_DEP_1) | instskip(SKIP_2) | instid1(VALU_DEP_2)
	v_cmp_ne_u32_e64 s1, v10, v14
	v_lshl_or_b32 v14, v9, 12, v6
	s_wait_alu 0xf1ff
	v_cndmask_b32_e64 v10, 0, 1, s1
	v_cmp_gt_i32_e64 s1, 1, v9
	s_delay_alu instid0(VALU_DEP_2) | instskip(SKIP_1) | instid1(VALU_DEP_1)
	v_or_b32_e32 v10, v16, v10
	s_wait_alu 0xf1ff
	v_cndmask_b32_e64 v10, v14, v10, s1
	s_delay_alu instid0(VALU_DEP_1) | instskip(SKIP_1) | instid1(VALU_DEP_2)
	v_and_b32_e32 v14, 7, v10
	v_lshrrev_b32_e32 v10, 2, v10
	v_cmp_lt_i32_e64 s1, 5, v14
	v_cmp_eq_u32_e64 s2, 3, v14
	v_cndmask_b32_e64 v14, 0, 1, s0
	v_cmp_ne_u32_e64 s0, 0, v6
	v_add_nc_u32_e32 v6, 0xfffffc10, v19
	s_delay_alu instid0(VALU_DEP_4) | instskip(NEXT) | instid1(VALU_DEP_3)
	s_or_b32 s1, s2, s1
	v_or_b32_e32 v14, v20, v14
	s_wait_alu 0xfffe
	v_add_co_ci_u32_e64 v10, s1, 0, v10, s1
	v_lshl_or_b32 v16, v6, 12, v18
	v_cmp_gt_i32_e64 s3, 1, v6
	v_cmp_gt_i32_e64 s1, 31, v9
	v_cmp_ne_u32_e64 s2, 0, v18
	s_wait_alu 0xf1ff
	s_delay_alu instid0(VALU_DEP_3) | instskip(SKIP_3) | instid1(VALU_DEP_3)
	v_cndmask_b32_e64 v14, v16, v14, s3
	v_cndmask_b32_e64 v16, 0, 1, s0
	;; [unrolled: 1-line block ×3, first 2 shown]
	v_cmp_eq_u32_e64 s0, 0x40f, v9
	v_lshl_or_b32 v16, v16, 9, 0x7c00
	s_wait_alu 0xf1ff
	s_delay_alu instid0(VALU_DEP_1) | instskip(SKIP_1) | instid1(VALU_DEP_2)
	v_cndmask_b32_e64 v9, v10, v16, s0
	v_and_b32_e32 v10, 7, v14
	v_and_or_b32 v7, 0x8000, v7, v9
	s_delay_alu instid0(VALU_DEP_2) | instskip(SKIP_4) | instid1(VALU_DEP_4)
	v_cmp_lt_i32_e64 s0, 5, v10
	v_cmp_eq_u32_e64 s1, 3, v10
	v_lshrrev_b32_e32 v10, 2, v14
	v_cndmask_b32_e64 v14, 0, 1, s2
	v_and_b32_e32 v7, 0xffff, v7
	s_or_b32 s0, s1, s0
	s_wait_alu 0xfffe
	v_add_co_ci_u32_e64 v10, s0, 0, v10, s0
	v_cmp_gt_i32_e64 s0, 31, v6
	v_lshl_or_b32 v14, v14, 9, 0x7c00
	s_wait_alu 0xf1ff
	s_delay_alu instid0(VALU_DEP_2) | instskip(SKIP_2) | instid1(VALU_DEP_1)
	v_cndmask_b32_e64 v10, 0x7c00, v10, s0
	v_cmp_eq_u32_e64 s0, 0x40f, v6
	s_wait_alu 0xf1ff
	v_cndmask_b32_e64 v6, v10, v14, s0
	v_lshrrev_b32_e32 v10, 16, v13
	v_add_co_u32 v20, s0, v0, s12
	s_wait_alu 0xf1ff
	v_add_co_ci_u32_e64 v21, s0, s13, v1, s0
	s_delay_alu instid0(VALU_DEP_3)
	v_and_or_b32 v6, 0x8000, v10, v6
	ds_load_2addr_b32 v[9:10], v178 offset0:84 offset1:219
	v_lshl_or_b32 v6, v6, 16, v7
	global_store_b32 v[0:1], v6, off
	ds_load_2addr_b32 v[6:7], v183 offset0:56 offset1:191
	s_wait_dscnt 0x0
	v_lshrrev_b32_e32 v25, 16, v7
	s_wait_loadcnt 0x2
	v_mul_f16_e32 v0, v26, v7
	s_delay_alu instid0(VALU_DEP_1) | instskip(NEXT) | instid1(VALU_DEP_1)
	v_fma_f16 v0, v33, v25, -v0
	v_cvt_f32_f16_e32 v0, v0
	s_delay_alu instid0(VALU_DEP_1) | instskip(NEXT) | instid1(VALU_DEP_1)
	v_cvt_f64_f32_e32 v[0:1], v0
	v_mul_f64_e32 v[13:14], s[10:11], v[0:1]
	s_delay_alu instid0(VALU_DEP_1)
	v_and_or_b32 v0, 0x1ff, v14, v13
	v_lshrrev_b32_e32 v1, 8, v14
	v_bfe_u32 v28, v14, 20, 11
	v_lshrrev_b32_e32 v13, 16, v9
	v_lshrrev_b32_e32 v14, 16, v14
	v_cmp_ne_u32_e64 s0, 0, v0
	s_wait_alu 0xf1ff
	s_delay_alu instid0(VALU_DEP_1) | instskip(NEXT) | instid1(VALU_DEP_1)
	v_cndmask_b32_e64 v0, 0, 1, s0
	v_and_or_b32 v27, 0xffe, v1, v0
	v_sub_nc_u32_e32 v0, 0x3f1, v28
	s_delay_alu instid0(VALU_DEP_2) | instskip(NEXT) | instid1(VALU_DEP_2)
	v_or_b32_e32 v1, 0x1000, v27
	v_med3_i32 v0, v0, 0, 13
	s_delay_alu instid0(VALU_DEP_1) | instskip(NEXT) | instid1(VALU_DEP_1)
	v_lshrrev_b32_e32 v29, v0, v1
	v_lshlrev_b32_e32 v0, v0, v29
	s_delay_alu instid0(VALU_DEP_1) | instskip(SKIP_2) | instid1(VALU_DEP_1)
	v_cmp_ne_u32_e64 s2, v0, v1
	v_mul_f16_e32 v0, v30, v9
	s_wait_loadcnt 0x1
	v_fma_f16 v0, v32, v13, -v0
	s_delay_alu instid0(VALU_DEP_1) | instskip(NEXT) | instid1(VALU_DEP_1)
	v_cvt_f32_f16_e32 v0, v0
	v_cvt_f64_f32_e32 v[0:1], v0
	s_delay_alu instid0(VALU_DEP_1) | instskip(NEXT) | instid1(VALU_DEP_1)
	v_mul_f64_e32 v[0:1], s[10:11], v[0:1]
	v_and_or_b32 v0, 0x1ff, v1, v0
	v_lshrrev_b32_e32 v16, 8, v1
	s_delay_alu instid0(VALU_DEP_2) | instskip(SKIP_1) | instid1(VALU_DEP_1)
	v_cmp_ne_u32_e64 s0, 0, v0
	s_wait_alu 0xf1ff
	v_cndmask_b32_e64 v0, 0, 1, s0
	s_delay_alu instid0(VALU_DEP_1) | instskip(SKIP_2) | instid1(VALU_DEP_3)
	v_and_or_b32 v0, 0xffe, v16, v0
	v_bfe_u32 v16, v1, 20, 11
	v_lshrrev_b32_e32 v1, 16, v1
	v_or_b32_e32 v22, 0x1000, v0
	s_delay_alu instid0(VALU_DEP_3) | instskip(NEXT) | instid1(VALU_DEP_1)
	v_sub_nc_u32_e32 v18, 0x3f1, v16
	v_med3_i32 v18, v18, 0, 13
	s_delay_alu instid0(VALU_DEP_1) | instskip(NEXT) | instid1(VALU_DEP_1)
	v_lshrrev_b32_e32 v19, v18, v22
	v_lshlrev_b32_e32 v18, v18, v19
	s_delay_alu instid0(VALU_DEP_1) | instskip(SKIP_1) | instid1(VALU_DEP_1)
	v_cmp_ne_u32_e64 s1, v18, v22
	v_cvt_f64_f32_e32 v[17:18], v11
	v_mul_f64_e32 v[17:18], s[10:11], v[17:18]
	s_delay_alu instid0(VALU_DEP_1) | instskip(SKIP_1) | instid1(VALU_DEP_2)
	v_and_or_b32 v11, 0x1ff, v18, v17
	v_lshrrev_b32_e32 v17, 8, v18
	v_cmp_ne_u32_e64 s0, 0, v11
	s_wait_alu 0xf1ff
	s_delay_alu instid0(VALU_DEP_1) | instskip(NEXT) | instid1(VALU_DEP_1)
	v_cndmask_b32_e64 v11, 0, 1, s0
	v_and_or_b32 v11, 0xffe, v17, v11
	v_bfe_u32 v17, v18, 20, 11
	s_delay_alu instid0(VALU_DEP_2) | instskip(NEXT) | instid1(VALU_DEP_2)
	v_or_b32_e32 v23, 0x1000, v11
	v_sub_nc_u32_e32 v22, 0x3f1, v17
	v_add_nc_u32_e32 v17, 0xfffffc10, v17
	s_delay_alu instid0(VALU_DEP_2) | instskip(NEXT) | instid1(VALU_DEP_1)
	v_med3_i32 v22, v22, 0, 13
	v_lshrrev_b32_e32 v24, v22, v23
	s_delay_alu instid0(VALU_DEP_1) | instskip(NEXT) | instid1(VALU_DEP_1)
	v_lshlrev_b32_e32 v22, v22, v24
	v_cmp_ne_u32_e64 s0, v22, v23
	v_lshl_or_b32 v23, v17, 12, v11
	s_wait_alu 0xf1ff
	s_delay_alu instid0(VALU_DEP_2) | instskip(SKIP_1) | instid1(VALU_DEP_2)
	v_cndmask_b32_e64 v22, 0, 1, s0
	v_cmp_gt_i32_e64 s0, 1, v17
	v_or_b32_e32 v22, v24, v22
	s_wait_alu 0xf1ff
	s_delay_alu instid0(VALU_DEP_1) | instskip(NEXT) | instid1(VALU_DEP_1)
	v_cndmask_b32_e64 v22, v23, v22, s0
	v_and_b32_e32 v23, 7, v22
	s_delay_alu instid0(VALU_DEP_1)
	v_cmp_lt_i32_e64 s0, 5, v23
	v_cmp_eq_u32_e64 s3, 3, v23
	s_wait_alu 0xfffd
	v_cndmask_b32_e64 v23, 0, 1, vcc_lo
	v_cmp_ne_u32_e32 vcc_lo, 0, v11
	v_lshl_or_b32 v11, v5, 12, v3
	s_or_b32 s0, s3, s0
	s_delay_alu instid0(VALU_DEP_3) | instskip(SKIP_2) | instid1(VALU_DEP_3)
	v_or_b32_e32 v15, v15, v23
	v_cmp_ne_u32_e64 s3, 0, v3
	v_lshrrev_b32_e32 v3, 16, v18
	v_cndmask_b32_e64 v11, v11, v15, s4
	v_lshrrev_b32_e32 v15, 2, v22
	s_wait_alu 0xfffd
	v_cndmask_b32_e64 v22, 0, 1, vcc_lo
	v_cmp_eq_u32_e32 vcc_lo, 0x40f, v17
	s_wait_alu 0xfffe
	v_add_co_ci_u32_e64 v15, s0, 0, v15, s0
	v_cmp_gt_i32_e64 s0, 31, v17
	v_lshl_or_b32 v22, v22, 9, 0x7c00
	v_and_b32_e32 v17, 7, v11
	v_lshrrev_b32_e32 v11, 2, v11
	s_wait_alu 0xf1ff
	v_cndmask_b32_e64 v15, 0x7c00, v15, s0
	s_delay_alu instid0(VALU_DEP_3) | instskip(SKIP_1) | instid1(VALU_DEP_2)
	v_cmp_eq_u32_e64 s0, 3, v17
	s_wait_alu 0xfffd
	v_cndmask_b32_e32 v15, v15, v22, vcc_lo
	v_cmp_lt_i32_e32 vcc_lo, 5, v17
	v_cndmask_b32_e64 v17, 0, 1, s3
	s_delay_alu instid0(VALU_DEP_3) | instskip(SKIP_1) | instid1(VALU_DEP_2)
	v_and_or_b32 v3, 0x8000, v3, v15
	s_or_b32 vcc_lo, s0, vcc_lo
	v_lshl_or_b32 v17, v17, 9, 0x7c00
	s_wait_alu 0xfffe
	v_add_co_ci_u32_e32 v11, vcc_lo, 0, v11, vcc_lo
	v_cmp_gt_i32_e32 vcc_lo, 31, v5
	v_and_b32_e32 v3, 0xffff, v3
	s_wait_alu 0xfffd
	s_delay_alu instid0(VALU_DEP_3) | instskip(SKIP_2) | instid1(VALU_DEP_2)
	v_cndmask_b32_e32 v11, 0x7c00, v11, vcc_lo
	v_cmp_eq_u32_e32 vcc_lo, 0x40f, v5
	s_wait_alu 0xfffd
	v_cndmask_b32_e32 v5, v11, v17, vcc_lo
	v_add_co_u32 v23, vcc_lo, v20, s12
	s_wait_alu 0xfffd
	v_add_co_ci_u32_e32 v24, vcc_lo, s13, v21, vcc_lo
	s_delay_alu instid0(VALU_DEP_3) | instskip(NEXT) | instid1(VALU_DEP_1)
	v_and_or_b32 v4, 0x8000, v4, v5
	v_lshl_or_b32 v3, v4, 16, v3
	ds_load_2addr_b32 v[4:5], v182 offset0:98 offset1:233
	global_store_b32 v[20:21], v3, off
	s_wait_dscnt 0x0
	v_lshrrev_b32_e32 v22, 16, v5
	s_wait_loadcnt 0x0
	v_mul_f16_e32 v3, v31, v5
	s_delay_alu instid0(VALU_DEP_1) | instskip(NEXT) | instid1(VALU_DEP_1)
	v_fma_f16 v3, v35, v22, -v3
	v_cvt_f32_f16_e32 v3, v3
	s_delay_alu instid0(VALU_DEP_1) | instskip(NEXT) | instid1(VALU_DEP_1)
	v_cvt_f64_f32_e32 v[17:18], v3
	v_mul_f64_e32 v[17:18], s[10:11], v[17:18]
	s_delay_alu instid0(VALU_DEP_1) | instskip(SKIP_2) | instid1(VALU_DEP_3)
	v_and_or_b32 v3, 0x1ff, v18, v17
	v_lshrrev_b32_e32 v11, 8, v18
	v_bfe_u32 v20, v18, 20, 11
	v_cmp_ne_u32_e32 vcc_lo, 0, v3
	s_wait_alu 0xfffd
	v_cndmask_b32_e64 v3, 0, 1, vcc_lo
	s_delay_alu instid0(VALU_DEP_1) | instskip(SKIP_1) | instid1(VALU_DEP_2)
	v_and_or_b32 v3, 0xffe, v11, v3
	v_sub_nc_u32_e32 v11, 0x3f1, v20
	v_or_b32_e32 v15, 0x1000, v3
	s_delay_alu instid0(VALU_DEP_2) | instskip(NEXT) | instid1(VALU_DEP_1)
	v_med3_i32 v11, v11, 0, 13
	v_lshrrev_b32_e32 v21, v11, v15
	s_delay_alu instid0(VALU_DEP_1) | instskip(NEXT) | instid1(VALU_DEP_1)
	v_lshlrev_b32_e32 v11, v11, v21
	v_cmp_ne_u32_e64 s0, v11, v15
	v_mul_f16_e32 v11, v26, v25
	s_delay_alu instid0(VALU_DEP_1) | instskip(SKIP_2) | instid1(VALU_DEP_1)
	v_fmac_f16_e32 v11, v33, v7
	scratch_load_b32 v33, off, off offset:176 th:TH_LOAD_LU ; 4-byte Folded Reload
	v_cvt_f32_f16_e32 v7, v11
	v_cvt_f64_f32_e32 v[25:26], v7
	s_delay_alu instid0(VALU_DEP_1) | instskip(NEXT) | instid1(VALU_DEP_1)
	v_mul_f64_e32 v[25:26], s[10:11], v[25:26]
	v_and_or_b32 v7, 0x1ff, v26, v25
	v_lshrrev_b32_e32 v11, 8, v26
	s_delay_alu instid0(VALU_DEP_2) | instskip(SKIP_2) | instid1(VALU_DEP_1)
	v_cmp_ne_u32_e32 vcc_lo, 0, v7
	s_wait_alu 0xfffd
	v_cndmask_b32_e64 v7, 0, 1, vcc_lo
	v_and_or_b32 v7, 0xffe, v11, v7
	v_bfe_u32 v11, v26, 20, 11
	s_delay_alu instid0(VALU_DEP_2) | instskip(NEXT) | instid1(VALU_DEP_2)
	v_or_b32_e32 v17, 0x1000, v7
	v_sub_nc_u32_e32 v15, 0x3f1, v11
	v_add_nc_u32_e32 v11, 0xfffffc10, v11
	s_delay_alu instid0(VALU_DEP_2) | instskip(NEXT) | instid1(VALU_DEP_1)
	v_med3_i32 v15, v15, 0, 13
	v_lshrrev_b32_e32 v25, v15, v17
	s_delay_alu instid0(VALU_DEP_1) | instskip(NEXT) | instid1(VALU_DEP_1)
	v_lshlrev_b32_e32 v15, v15, v25
	v_cmp_ne_u32_e32 vcc_lo, v15, v17
	v_lshl_or_b32 v17, v11, 12, v7
	s_wait_alu 0xfffd
	v_cndmask_b32_e64 v15, 0, 1, vcc_lo
	v_cmp_gt_i32_e32 vcc_lo, 1, v11
	s_delay_alu instid0(VALU_DEP_2) | instskip(SKIP_1) | instid1(VALU_DEP_1)
	v_or_b32_e32 v15, v25, v15
	s_wait_alu 0xfffd
	v_cndmask_b32_e32 v15, v17, v15, vcc_lo
	s_delay_alu instid0(VALU_DEP_1) | instskip(SKIP_1) | instid1(VALU_DEP_2)
	v_and_b32_e32 v17, 7, v15
	v_lshrrev_b32_e32 v15, 2, v15
	v_cmp_lt_i32_e32 vcc_lo, 5, v17
	v_cmp_eq_u32_e64 s3, 3, v17
	v_cndmask_b32_e64 v17, 0, 1, s2
	v_cmp_ne_u32_e64 s2, 0, v7
	v_add_nc_u32_e32 v7, 0xfffffc10, v28
	s_delay_alu instid0(VALU_DEP_4) | instskip(NEXT) | instid1(VALU_DEP_3)
	s_or_b32 vcc_lo, s3, vcc_lo
	v_or_b32_e32 v17, v29, v17
	s_wait_alu 0xfffe
	v_add_co_ci_u32_e32 v15, vcc_lo, 0, v15, vcc_lo
	v_lshl_or_b32 v25, v7, 12, v27
	v_cmp_gt_i32_e64 s4, 1, v7
	v_cmp_gt_i32_e32 vcc_lo, 31, v11
	v_cmp_ne_u32_e64 s3, 0, v27
	s_wait_alu 0xf1ff
	s_delay_alu instid0(VALU_DEP_3) | instskip(SKIP_4) | instid1(VALU_DEP_3)
	v_cndmask_b32_e64 v17, v25, v17, s4
	v_cndmask_b32_e64 v25, 0, 1, s2
	s_wait_alu 0xfffd
	v_cndmask_b32_e32 v15, 0x7c00, v15, vcc_lo
	v_cmp_eq_u32_e32 vcc_lo, 0x40f, v11
	v_lshl_or_b32 v25, v25, 9, 0x7c00
	s_wait_alu 0xfffd
	s_delay_alu instid0(VALU_DEP_1) | instskip(SKIP_3) | instid1(VALU_DEP_3)
	v_cndmask_b32_e32 v11, v15, v25, vcc_lo
	v_and_b32_e32 v25, 7, v17
	v_lshrrev_b32_e32 v17, 2, v17
	v_lshrrev_b32_e32 v15, 16, v26
	v_cmp_lt_i32_e32 vcc_lo, 5, v25
	v_cmp_eq_u32_e64 s2, 3, v25
	v_cndmask_b32_e64 v25, 0, 1, s3
	s_delay_alu instid0(VALU_DEP_4) | instskip(NEXT) | instid1(VALU_DEP_3)
	v_and_or_b32 v11, 0x8000, v15, v11
	s_or_b32 vcc_lo, s2, vcc_lo
	s_delay_alu instid0(VALU_DEP_2)
	v_lshl_or_b32 v25, v25, 9, 0x7c00
	s_wait_alu 0xfffe
	v_add_co_ci_u32_e32 v17, vcc_lo, 0, v17, vcc_lo
	v_cmp_gt_i32_e32 vcc_lo, 31, v7
	v_and_b32_e32 v11, 0xffff, v11
	s_wait_alu 0xfffd
	s_delay_alu instid0(VALU_DEP_3) | instskip(SKIP_2) | instid1(VALU_DEP_2)
	v_cndmask_b32_e32 v17, 0x7c00, v17, vcc_lo
	v_cmp_eq_u32_e32 vcc_lo, 0x40f, v7
	s_wait_alu 0xfffd
	v_cndmask_b32_e32 v7, v17, v25, vcc_lo
	s_delay_alu instid0(VALU_DEP_1) | instskip(SKIP_3) | instid1(VALU_DEP_3)
	v_and_or_b32 v7, 0x8000, v14, v7
	v_add_co_u32 v14, vcc_lo, v23, s12
	s_wait_alu 0xfffd
	v_add_co_ci_u32_e32 v15, vcc_lo, s13, v24, vcc_lo
	v_lshl_or_b32 v7, v7, 16, v11
	global_store_b32 v[23:24], v7, off
	v_mul_f16_e32 v7, v30, v13
	s_delay_alu instid0(VALU_DEP_1) | instskip(SKIP_2) | instid1(VALU_DEP_1)
	v_fmac_f16_e32 v7, v32, v9
	scratch_load_b32 v32, off, off offset:184 th:TH_LOAD_LU ; 4-byte Folded Reload
	v_cvt_f32_f16_e32 v7, v7
	v_cvt_f64_f32_e32 v[23:24], v7
	s_delay_alu instid0(VALU_DEP_1) | instskip(NEXT) | instid1(VALU_DEP_1)
	v_mul_f64_e32 v[23:24], s[10:11], v[23:24]
	v_and_or_b32 v7, 0x1ff, v24, v23
	v_lshrrev_b32_e32 v9, 8, v24
	s_delay_alu instid0(VALU_DEP_2) | instskip(SKIP_2) | instid1(VALU_DEP_1)
	v_cmp_ne_u32_e32 vcc_lo, 0, v7
	s_wait_alu 0xfffd
	v_cndmask_b32_e64 v7, 0, 1, vcc_lo
	v_and_or_b32 v7, 0xffe, v9, v7
	v_bfe_u32 v9, v24, 20, 11
	s_delay_alu instid0(VALU_DEP_2) | instskip(NEXT) | instid1(VALU_DEP_2)
	v_or_b32_e32 v13, 0x1000, v7
	v_sub_nc_u32_e32 v11, 0x3f1, v9
	v_add_nc_u32_e32 v9, 0xfffffc10, v9
	s_delay_alu instid0(VALU_DEP_2) | instskip(NEXT) | instid1(VALU_DEP_1)
	v_med3_i32 v11, v11, 0, 13
	v_lshrrev_b32_e32 v17, v11, v13
	s_delay_alu instid0(VALU_DEP_1) | instskip(NEXT) | instid1(VALU_DEP_1)
	v_lshlrev_b32_e32 v11, v11, v17
	v_cmp_ne_u32_e32 vcc_lo, v11, v13
	v_lshl_or_b32 v13, v9, 12, v7
	s_wait_alu 0xfffd
	v_cndmask_b32_e64 v11, 0, 1, vcc_lo
	v_cmp_gt_i32_e32 vcc_lo, 1, v9
	s_delay_alu instid0(VALU_DEP_2) | instskip(SKIP_1) | instid1(VALU_DEP_1)
	v_or_b32_e32 v11, v17, v11
	s_wait_alu 0xfffd
	v_cndmask_b32_e32 v11, v13, v11, vcc_lo
	s_delay_alu instid0(VALU_DEP_1) | instskip(SKIP_1) | instid1(VALU_DEP_2)
	v_and_b32_e32 v13, 7, v11
	v_lshrrev_b32_e32 v11, 2, v11
	v_cmp_lt_i32_e32 vcc_lo, 5, v13
	v_cmp_eq_u32_e64 s2, 3, v13
	v_cndmask_b32_e64 v13, 0, 1, s1
	v_cmp_ne_u32_e64 s1, 0, v7
	v_add_nc_u32_e32 v7, 0xfffffc10, v16
	s_delay_alu instid0(VALU_DEP_4) | instskip(NEXT) | instid1(VALU_DEP_3)
	s_or_b32 vcc_lo, s2, vcc_lo
	v_or_b32_e32 v13, v19, v13
	s_wait_alu 0xfffe
	v_add_co_ci_u32_e32 v11, vcc_lo, 0, v11, vcc_lo
	v_lshl_or_b32 v16, v7, 12, v0
	v_cmp_gt_i32_e64 s3, 1, v7
	v_cmp_gt_i32_e32 vcc_lo, 31, v9
	v_cmp_ne_u32_e64 s2, 0, v0
	v_lshrrev_b32_e32 v0, 16, v24
	s_wait_alu 0xf1ff
	v_cndmask_b32_e64 v13, v16, v13, s3
	v_cndmask_b32_e64 v16, 0, 1, s1
	s_wait_alu 0xfffd
	v_cndmask_b32_e32 v11, 0x7c00, v11, vcc_lo
	v_cmp_eq_u32_e32 vcc_lo, 0x40f, v9
	s_delay_alu instid0(VALU_DEP_3) | instskip(SKIP_1) | instid1(VALU_DEP_1)
	v_lshl_or_b32 v16, v16, 9, 0x7c00
	s_wait_alu 0xfffd
	v_cndmask_b32_e32 v9, v11, v16, vcc_lo
	v_and_b32_e32 v11, 7, v13
	s_delay_alu instid0(VALU_DEP_2) | instskip(NEXT) | instid1(VALU_DEP_2)
	v_and_or_b32 v0, 0x8000, v0, v9
	v_cmp_lt_i32_e32 vcc_lo, 5, v11
	v_cmp_eq_u32_e64 s1, 3, v11
	v_lshrrev_b32_e32 v11, 2, v13
	v_cndmask_b32_e64 v13, 0, 1, s2
	v_and_b32_e32 v0, 0xffff, v0
	s_delay_alu instid0(VALU_DEP_4)
	s_or_b32 vcc_lo, s1, vcc_lo
	s_wait_alu 0xfffe
	v_add_co_ci_u32_e32 v11, vcc_lo, 0, v11, vcc_lo
	v_cmp_gt_i32_e32 vcc_lo, 31, v7
	v_lshl_or_b32 v13, v13, 9, 0x7c00
	s_wait_alu 0xfffd
	s_delay_alu instid0(VALU_DEP_3) | instskip(SKIP_2) | instid1(VALU_DEP_2)
	v_cndmask_b32_e32 v11, 0x7c00, v11, vcc_lo
	v_cmp_eq_u32_e32 vcc_lo, 0x40f, v7
	s_wait_alu 0xfffd
	v_cndmask_b32_e32 v7, v11, v13, vcc_lo
	v_add_co_u32 v25, vcc_lo, v14, s12
	s_wait_alu 0xfffd
	v_add_co_ci_u32_e32 v26, vcc_lo, s13, v15, vcc_lo
	s_delay_alu instid0(VALU_DEP_3) | instskip(NEXT) | instid1(VALU_DEP_1)
	v_and_or_b32 v1, 0x8000, v1, v7
	v_lshl_or_b32 v0, v1, 16, v0
	global_store_b32 v[14:15], v0, off
	ds_load_2addr_b32 v[14:15], v170 offset0:62 offset1:197
	s_wait_dscnt 0x0
	v_lshrrev_b32_e32 v9, 16, v14
	v_mul_f16_e32 v0, v34, v14
	s_wait_loadcnt 0x0
	s_delay_alu instid0(VALU_DEP_1) | instskip(NEXT) | instid1(VALU_DEP_1)
	v_fma_f16 v0, v32, v9, -v0
	v_cvt_f32_f16_e32 v0, v0
	s_delay_alu instid0(VALU_DEP_1) | instskip(NEXT) | instid1(VALU_DEP_1)
	v_cvt_f64_f32_e32 v[0:1], v0
	v_mul_f64_e32 v[27:28], s[10:11], v[0:1]
	s_delay_alu instid0(VALU_DEP_1) | instskip(SKIP_2) | instid1(VALU_DEP_3)
	v_and_or_b32 v0, 0x1ff, v28, v27
	v_lshrrev_b32_e32 v1, 8, v28
	v_bfe_u32 v29, v28, 20, 11
	v_cmp_ne_u32_e32 vcc_lo, 0, v0
	s_wait_alu 0xfffd
	v_cndmask_b32_e64 v0, 0, 1, vcc_lo
	s_delay_alu instid0(VALU_DEP_1) | instskip(SKIP_1) | instid1(VALU_DEP_2)
	v_and_or_b32 v27, 0xffe, v1, v0
	v_sub_nc_u32_e32 v0, 0x3f1, v29
	v_or_b32_e32 v1, 0x1000, v27
	s_delay_alu instid0(VALU_DEP_2) | instskip(NEXT) | instid1(VALU_DEP_1)
	v_med3_i32 v0, v0, 0, 13
	v_lshrrev_b32_e32 v30, v0, v1
	s_delay_alu instid0(VALU_DEP_1) | instskip(NEXT) | instid1(VALU_DEP_1)
	v_lshlrev_b32_e32 v0, v0, v30
	v_cmp_ne_u32_e64 s1, v0, v1
	ds_load_2addr_b32 v[0:1], v180 offset0:12 offset1:147
	s_wait_dscnt 0x0
	v_lshrrev_b32_e32 v7, 16, v1
	v_mul_f16_e32 v11, v37, v1
	s_delay_alu instid0(VALU_DEP_1) | instskip(SKIP_1) | instid1(VALU_DEP_2)
	v_fma_f16 v11, v33, v7, -v11
	v_mul_f16_e32 v7, v37, v7
	v_cvt_f32_f16_e32 v11, v11
	s_delay_alu instid0(VALU_DEP_2) | instskip(NEXT) | instid1(VALU_DEP_2)
	v_fmac_f16_e32 v7, v33, v1
	v_cvt_f64_f32_e32 v[16:17], v11
	s_delay_alu instid0(VALU_DEP_2) | instskip(NEXT) | instid1(VALU_DEP_2)
	v_cvt_f32_f16_e32 v1, v7
	v_mul_f64_e32 v[16:17], s[10:11], v[16:17]
	s_delay_alu instid0(VALU_DEP_1) | instskip(SKIP_2) | instid1(VALU_DEP_3)
	v_and_or_b32 v11, 0x1ff, v17, v16
	v_lshrrev_b32_e32 v13, 8, v17
	v_bfe_u32 v16, v17, 20, 11
	v_cmp_ne_u32_e32 vcc_lo, 0, v11
	s_wait_alu 0xfffd
	v_cndmask_b32_e64 v11, 0, 1, vcc_lo
	s_delay_alu instid0(VALU_DEP_1) | instskip(SKIP_2) | instid1(VALU_DEP_3)
	v_and_or_b32 v11, 0xffe, v13, v11
	v_sub_nc_u32_e32 v13, 0x3f1, v16
	v_add_nc_u32_e32 v16, 0xfffffc10, v16
	v_or_b32_e32 v19, 0x1000, v11
	s_delay_alu instid0(VALU_DEP_3) | instskip(NEXT) | instid1(VALU_DEP_1)
	v_med3_i32 v13, v13, 0, 13
	v_lshrrev_b32_e32 v24, v13, v19
	s_delay_alu instid0(VALU_DEP_1) | instskip(NEXT) | instid1(VALU_DEP_1)
	v_lshlrev_b32_e32 v13, v13, v24
	v_cmp_ne_u32_e32 vcc_lo, v13, v19
	v_mul_f16_e32 v13, v31, v22
	s_delay_alu instid0(VALU_DEP_1) | instskip(NEXT) | instid1(VALU_DEP_1)
	v_fmac_f16_e32 v13, v35, v5
	v_cvt_f32_f16_e32 v5, v13
	s_delay_alu instid0(VALU_DEP_1) | instskip(NEXT) | instid1(VALU_DEP_1)
	v_cvt_f64_f32_e32 v[22:23], v5
	v_mul_f64_e32 v[22:23], s[10:11], v[22:23]
	s_delay_alu instid0(VALU_DEP_1) | instskip(SKIP_1) | instid1(VALU_DEP_2)
	v_and_or_b32 v5, 0x1ff, v23, v22
	v_lshrrev_b32_e32 v13, 8, v23
	v_cmp_ne_u32_e64 s2, 0, v5
	s_wait_alu 0xf1ff
	s_delay_alu instid0(VALU_DEP_1) | instskip(NEXT) | instid1(VALU_DEP_1)
	v_cndmask_b32_e64 v5, 0, 1, s2
	v_and_or_b32 v5, 0xffe, v13, v5
	v_bfe_u32 v13, v23, 20, 11
	s_delay_alu instid0(VALU_DEP_2) | instskip(NEXT) | instid1(VALU_DEP_2)
	v_or_b32_e32 v22, 0x1000, v5
	v_sub_nc_u32_e32 v19, 0x3f1, v13
	v_add_nc_u32_e32 v13, 0xfffffc10, v13
	s_delay_alu instid0(VALU_DEP_2) | instskip(NEXT) | instid1(VALU_DEP_1)
	v_med3_i32 v19, v19, 0, 13
	v_lshrrev_b32_e32 v31, v19, v22
	s_delay_alu instid0(VALU_DEP_1) | instskip(NEXT) | instid1(VALU_DEP_1)
	v_lshlrev_b32_e32 v19, v19, v31
	v_cmp_ne_u32_e64 s2, v19, v22
	v_lshl_or_b32 v22, v13, 12, v5
	s_wait_alu 0xf1ff
	s_delay_alu instid0(VALU_DEP_2) | instskip(SKIP_1) | instid1(VALU_DEP_2)
	v_cndmask_b32_e64 v19, 0, 1, s2
	v_cmp_gt_i32_e64 s2, 1, v13
	v_or_b32_e32 v19, v31, v19
	s_wait_alu 0xf1ff
	s_delay_alu instid0(VALU_DEP_1) | instskip(NEXT) | instid1(VALU_DEP_1)
	v_cndmask_b32_e64 v19, v22, v19, s2
	v_and_b32_e32 v22, 7, v19
	v_lshrrev_b32_e32 v19, 2, v19
	s_delay_alu instid0(VALU_DEP_2) | instskip(SKIP_4) | instid1(VALU_DEP_4)
	v_cmp_lt_i32_e64 s2, 5, v22
	v_cmp_eq_u32_e64 s3, 3, v22
	v_cndmask_b32_e64 v22, 0, 1, s0
	v_cmp_ne_u32_e64 s0, 0, v5
	v_add_nc_u32_e32 v5, 0xfffffc10, v20
	s_or_b32 s2, s3, s2
	s_delay_alu instid0(VALU_DEP_3)
	v_or_b32_e32 v21, v21, v22
	s_wait_alu 0xfffe
	v_add_co_ci_u32_e64 v19, s2, 0, v19, s2
	v_lshl_or_b32 v20, v5, 12, v3
	v_cmp_gt_i32_e64 s4, 1, v5
	v_cmp_gt_i32_e64 s2, 31, v13
	v_cmp_ne_u32_e64 s3, 0, v3
	s_wait_alu 0xf1ff
	s_delay_alu instid0(VALU_DEP_3) | instskip(SKIP_3) | instid1(VALU_DEP_4)
	v_cndmask_b32_e64 v20, v20, v21, s4
	v_cndmask_b32_e64 v21, 0, 1, s0
	;; [unrolled: 1-line block ×3, first 2 shown]
	v_cmp_eq_u32_e64 s0, 0x40f, v13
	v_lshrrev_b32_e32 v3, 2, v20
	s_delay_alu instid0(VALU_DEP_4) | instskip(SKIP_1) | instid1(VALU_DEP_1)
	v_lshl_or_b32 v21, v21, 9, 0x7c00
	s_wait_alu 0xf1ff
	v_cndmask_b32_e64 v13, v19, v21, s0
	v_and_b32_e32 v21, 7, v20
	v_cndmask_b32_e64 v20, 0, 1, s3
	v_lshrrev_b32_e32 v19, 16, v23
	s_delay_alu instid0(VALU_DEP_3) | instskip(SKIP_1) | instid1(VALU_DEP_4)
	v_cmp_lt_i32_e64 s0, 5, v21
	v_cmp_eq_u32_e64 s2, 3, v21
	v_lshl_or_b32 v20, v20, 9, 0x7c00
	s_delay_alu instid0(VALU_DEP_4) | instskip(NEXT) | instid1(VALU_DEP_3)
	v_and_or_b32 v13, 0x8000, v19, v13
	s_or_b32 s0, s2, s0
	s_wait_alu 0xfffe
	v_add_co_ci_u32_e64 v3, s0, 0, v3, s0
	v_cmp_gt_i32_e64 s0, 31, v5
	s_wait_alu 0xf1ff
	s_delay_alu instid0(VALU_DEP_1) | instskip(SKIP_3) | instid1(VALU_DEP_2)
	v_cndmask_b32_e64 v3, 0x7c00, v3, s0
	v_cmp_eq_u32_e64 s0, 0x40f, v5
	v_lshrrev_b32_e32 v5, 16, v18
	s_wait_alu 0xf1ff
	v_cndmask_b32_e64 v3, v3, v20, s0
	v_add_co_u32 v18, s0, v25, s12
	s_wait_alu 0xf1ff
	v_add_co_ci_u32_e64 v19, s0, s13, v26, s0
	s_delay_alu instid0(VALU_DEP_3) | instskip(SKIP_1) | instid1(VALU_DEP_1)
	v_and_or_b32 v3, 0x8000, v5, v3
	v_and_b32_e32 v5, 0xffff, v13
	v_lshl_or_b32 v3, v3, 16, v5
	global_store_b32 v[25:26], v3, off
	v_mul_f16_e32 v3, v34, v9
	s_delay_alu instid0(VALU_DEP_1) | instskip(NEXT) | instid1(VALU_DEP_1)
	v_fmac_f16_e32 v3, v32, v14
	v_cvt_f32_f16_e32 v3, v3
	s_delay_alu instid0(VALU_DEP_1) | instskip(NEXT) | instid1(VALU_DEP_1)
	v_cvt_f64_f32_e32 v[13:14], v3
	v_mul_f64_e32 v[13:14], s[10:11], v[13:14]
	s_delay_alu instid0(VALU_DEP_1) | instskip(SKIP_1) | instid1(VALU_DEP_2)
	v_and_or_b32 v3, 0x1ff, v14, v13
	v_lshrrev_b32_e32 v5, 8, v14
	v_cmp_ne_u32_e64 s0, 0, v3
	s_wait_alu 0xf1ff
	s_delay_alu instid0(VALU_DEP_1) | instskip(NEXT) | instid1(VALU_DEP_1)
	v_cndmask_b32_e64 v3, 0, 1, s0
	v_and_or_b32 v3, 0xffe, v5, v3
	v_bfe_u32 v5, v14, 20, 11
	s_delay_alu instid0(VALU_DEP_2) | instskip(NEXT) | instid1(VALU_DEP_2)
	v_or_b32_e32 v13, 0x1000, v3
	v_sub_nc_u32_e32 v9, 0x3f1, v5
	v_add_nc_u32_e32 v5, 0xfffffc10, v5
	v_cmp_ne_u32_e64 s2, 0, v3
	s_delay_alu instid0(VALU_DEP_3) | instskip(NEXT) | instid1(VALU_DEP_1)
	v_med3_i32 v9, v9, 0, 13
	v_lshrrev_b32_e32 v20, v9, v13
	s_delay_alu instid0(VALU_DEP_1) | instskip(NEXT) | instid1(VALU_DEP_1)
	v_lshlrev_b32_e32 v9, v9, v20
	v_cmp_ne_u32_e64 s0, v9, v13
	v_lshl_or_b32 v13, v5, 12, v3
	s_wait_alu 0xf1ff
	s_delay_alu instid0(VALU_DEP_2) | instskip(SKIP_1) | instid1(VALU_DEP_2)
	v_cndmask_b32_e64 v9, 0, 1, s0
	v_cmp_gt_i32_e64 s0, 1, v5
	v_or_b32_e32 v9, v20, v9
	v_add_nc_u32_e32 v20, 0xfffffc10, v29
	s_wait_alu 0xf1ff
	s_delay_alu instid0(VALU_DEP_2) | instskip(SKIP_1) | instid1(VALU_DEP_3)
	v_cndmask_b32_e64 v9, v13, v9, s0
	v_cndmask_b32_e64 v13, 0, 1, s1
	v_lshl_or_b32 v21, v20, 12, v27
	v_cmp_gt_i32_e64 s0, 1, v20
	s_delay_alu instid0(VALU_DEP_3) | instskip(SKIP_1) | instid1(VALU_DEP_1)
	v_or_b32_e32 v13, v30, v13
	s_wait_alu 0xf1ff
	v_cndmask_b32_e64 v13, v21, v13, s0
	v_and_b32_e32 v21, 7, v9
	s_delay_alu instid0(VALU_DEP_2) | instskip(NEXT) | instid1(VALU_DEP_2)
	v_and_b32_e32 v3, 7, v13
	v_cmp_lt_i32_e64 s0, 5, v21
	v_cmp_eq_u32_e64 s1, 3, v21
	s_delay_alu instid0(VALU_DEP_3) | instskip(SKIP_2) | instid1(VALU_DEP_4)
	v_cmp_lt_i32_e64 s3, 5, v3
	v_cmp_eq_u32_e64 s4, 3, v3
	v_lshrrev_b32_e32 v3, 2, v9
	s_or_b32 s0, s1, s0
	v_cndmask_b32_e64 v9, 0, 1, s2
	s_delay_alu instid0(VALU_DEP_3)
	s_or_b32 s1, s4, s3
	s_wait_alu 0xfffe
	v_add_co_ci_u32_e64 v3, s0, 0, v3, s0
	v_cmp_gt_i32_e64 s0, 31, v5
	v_lshl_or_b32 v9, v9, 9, 0x7c00
	s_wait_alu 0xf1ff
	s_delay_alu instid0(VALU_DEP_2) | instskip(SKIP_3) | instid1(VALU_DEP_2)
	v_cndmask_b32_e64 v3, 0x7c00, v3, s0
	v_cmp_eq_u32_e64 s0, 0x40f, v5
	v_lshrrev_b32_e32 v5, 16, v14
	s_wait_alu 0xf1ff
	v_cndmask_b32_e64 v3, v3, v9, s0
	v_lshrrev_b32_e32 v9, 2, v13
	v_cmp_ne_u32_e64 s0, 0, v27
	s_delay_alu instid0(VALU_DEP_3) | instskip(NEXT) | instid1(VALU_DEP_3)
	v_and_or_b32 v3, 0x8000, v5, v3
	v_add_co_ci_u32_e64 v9, s1, 0, v9, s1
	v_cmp_gt_i32_e64 s1, 31, v20
	s_wait_alu 0xf1ff
	v_cndmask_b32_e64 v13, 0, 1, s0
	v_cmp_eq_u32_e64 s0, 0x40f, v20
	v_and_b32_e32 v3, 0xffff, v3
	v_cndmask_b32_e64 v9, 0x7c00, v9, s1
	s_delay_alu instid0(VALU_DEP_4) | instskip(SKIP_1) | instid1(VALU_DEP_1)
	v_lshl_or_b32 v13, v13, 9, 0x7c00
	s_wait_alu 0xf1ff
	v_cndmask_b32_e64 v9, v9, v13, s0
	v_lshrrev_b32_e32 v13, 16, v28
	v_add_co_u32 v28, s0, v18, s12
	s_wait_alu 0xf1ff
	v_add_co_ci_u32_e64 v29, s0, s13, v19, s0
	s_delay_alu instid0(VALU_DEP_3)
	v_and_or_b32 v5, 0x8000, v13, v9
	ds_load_2addr_b32 v[13:14], v177 offset0:40 offset1:175
	v_lshl_or_b32 v3, v5, 16, v3
	global_store_b32 v[18:19], v3, off
	s_wait_dscnt 0x0
	v_lshrrev_b32_e32 v5, 16, v13
	v_mul_f16_e32 v3, v41, v13
	s_delay_alu instid0(VALU_DEP_1) | instskip(NEXT) | instid1(VALU_DEP_1)
	v_fma_f16 v3, v38, v5, -v3
	v_cvt_f32_f16_e32 v3, v3
	s_delay_alu instid0(VALU_DEP_1) | instskip(NEXT) | instid1(VALU_DEP_1)
	v_cvt_f64_f32_e32 v[18:19], v3
	v_mul_f64_e32 v[30:31], s[10:11], v[18:19]
	scratch_load_b32 v18, off, off offset:160 th:TH_LOAD_LU ; 4-byte Folded Reload
	v_and_or_b32 v3, 0x1ff, v31, v30
	v_lshrrev_b32_e32 v9, 8, v31
	v_bfe_u32 v34, v31, 20, 11
	s_delay_alu instid0(VALU_DEP_3) | instskip(SKIP_1) | instid1(VALU_DEP_1)
	v_cmp_ne_u32_e64 s0, 0, v3
	s_wait_alu 0xf1ff
	v_cndmask_b32_e64 v3, 0, 1, s0
	s_delay_alu instid0(VALU_DEP_1) | instskip(SKIP_1) | instid1(VALU_DEP_2)
	v_and_or_b32 v30, 0xffe, v9, v3
	v_sub_nc_u32_e32 v3, 0x3f1, v34
	v_or_b32_e32 v9, 0x1000, v30
	s_delay_alu instid0(VALU_DEP_2) | instskip(NEXT) | instid1(VALU_DEP_1)
	v_med3_i32 v3, v3, 0, 13
	v_lshrrev_b32_e32 v35, v3, v9
	s_delay_alu instid0(VALU_DEP_1) | instskip(NEXT) | instid1(VALU_DEP_1)
	v_lshlrev_b32_e32 v3, v3, v35
	v_cmp_ne_u32_e64 s3, v3, v9
	scratch_load_b32 v9, off, off offset:164 th:TH_LOAD_LU ; 4-byte Folded Reload
	v_lshrrev_b32_e32 v3, 16, v2
	s_wait_loadcnt 0x0
	s_delay_alu instid0(VALU_DEP_1) | instskip(SKIP_1) | instid1(VALU_DEP_2)
	v_mul_f16_e32 v20, v9, v3
	v_mul_f16_e32 v9, v9, v2
	v_fmac_f16_e32 v20, v18, v2
	s_delay_alu instid0(VALU_DEP_2) | instskip(SKIP_4) | instid1(VALU_DEP_1)
	v_fma_f16 v36, v18, v3, -v9
	ds_load_2addr_b32 v[2:3], v173 offset0:54 offset1:189
	s_wait_dscnt 0x0
	v_lshrrev_b32_e32 v27, 16, v3
	v_mul_f16_e32 v9, v40, v3
	v_fma_f16 v9, v39, v27, -v9
	v_mul_f16_e32 v27, v40, v27
	scratch_load_b32 v40, off, off offset:76 th:TH_LOAD_LU ; 4-byte Folded Reload
	v_cvt_f32_f16_e32 v9, v9
	v_fmac_f16_e32 v27, v39, v3
	scratch_load_b32 v39, off, off offset:72 th:TH_LOAD_LU ; 4-byte Folded Reload
	v_cvt_f64_f32_e32 v[18:19], v9
	v_cvt_f32_f16_e32 v3, v27
	s_delay_alu instid0(VALU_DEP_2) | instskip(NEXT) | instid1(VALU_DEP_1)
	v_mul_f64_e32 v[18:19], s[10:11], v[18:19]
	v_and_or_b32 v9, 0x1ff, v19, v18
	v_lshrrev_b32_e32 v18, 8, v19
	v_bfe_u32 v22, v19, 20, 11
	v_lshrrev_b32_e32 v19, 16, v19
	s_delay_alu instid0(VALU_DEP_4) | instskip(SKIP_1) | instid1(VALU_DEP_1)
	v_cmp_ne_u32_e64 s0, 0, v9
	s_wait_alu 0xf1ff
	v_cndmask_b32_e64 v9, 0, 1, s0
	s_delay_alu instid0(VALU_DEP_1) | instskip(SKIP_2) | instid1(VALU_DEP_3)
	v_and_or_b32 v9, 0xffe, v18, v9
	v_sub_nc_u32_e32 v18, 0x3f1, v22
	v_add_nc_u32_e32 v22, 0xfffffc10, v22
	v_or_b32_e32 v21, 0x1000, v9
	s_delay_alu instid0(VALU_DEP_3) | instskip(NEXT) | instid1(VALU_DEP_1)
	v_med3_i32 v18, v18, 0, 13
	v_lshrrev_b32_e32 v23, v18, v21
	s_delay_alu instid0(VALU_DEP_1) | instskip(NEXT) | instid1(VALU_DEP_1)
	v_lshlrev_b32_e32 v18, v18, v23
	v_cmp_ne_u32_e64 s0, v18, v21
	v_cvt_f32_f16_e32 v18, v20
	s_delay_alu instid0(VALU_DEP_1) | instskip(NEXT) | instid1(VALU_DEP_1)
	v_cvt_f64_f32_e32 v[20:21], v18
	v_mul_f64_e32 v[20:21], s[10:11], v[20:21]
	s_delay_alu instid0(VALU_DEP_1) | instskip(SKIP_3) | instid1(VALU_DEP_4)
	v_and_or_b32 v18, 0x1ff, v21, v20
	v_lshrrev_b32_e32 v20, 8, v21
	v_bfe_u32 v25, v21, 20, 11
	v_lshrrev_b32_e32 v21, 16, v21
	v_cmp_ne_u32_e64 s1, 0, v18
	s_wait_alu 0xf1ff
	s_delay_alu instid0(VALU_DEP_1) | instskip(NEXT) | instid1(VALU_DEP_1)
	v_cndmask_b32_e64 v18, 0, 1, s1
	v_and_or_b32 v20, 0xffe, v20, v18
	v_sub_nc_u32_e32 v18, 0x3f1, v25
	s_delay_alu instid0(VALU_DEP_2) | instskip(NEXT) | instid1(VALU_DEP_2)
	v_or_b32_e32 v32, 0x1000, v20
	v_med3_i32 v18, v18, 0, 13
	s_delay_alu instid0(VALU_DEP_1) | instskip(NEXT) | instid1(VALU_DEP_1)
	v_lshrrev_b32_e32 v26, v18, v32
	v_lshlrev_b32_e32 v18, v18, v26
	s_delay_alu instid0(VALU_DEP_1) | instskip(SKIP_1) | instid1(VALU_DEP_1)
	v_cmp_ne_u32_e64 s1, v18, v32
	v_cvt_f64_f32_e32 v[32:33], v1
	v_mul_f64_e32 v[32:33], s[10:11], v[32:33]
	s_delay_alu instid0(VALU_DEP_1) | instskip(SKIP_1) | instid1(VALU_DEP_2)
	v_and_or_b32 v1, 0x1ff, v33, v32
	v_lshrrev_b32_e32 v7, 8, v33
	v_cmp_ne_u32_e64 s2, 0, v1
	s_wait_alu 0xf1ff
	s_delay_alu instid0(VALU_DEP_1) | instskip(NEXT) | instid1(VALU_DEP_1)
	v_cndmask_b32_e64 v1, 0, 1, s2
	v_and_or_b32 v1, 0xffe, v7, v1
	v_bfe_u32 v7, v33, 20, 11
	s_delay_alu instid0(VALU_DEP_2) | instskip(NEXT) | instid1(VALU_DEP_2)
	v_or_b32_e32 v32, 0x1000, v1
	v_sub_nc_u32_e32 v18, 0x3f1, v7
	v_add_nc_u32_e32 v7, 0xfffffc10, v7
	v_cmp_ne_u32_e64 s5, 0, v1
	s_delay_alu instid0(VALU_DEP_3) | instskip(NEXT) | instid1(VALU_DEP_1)
	v_med3_i32 v18, v18, 0, 13
	v_lshrrev_b32_e32 v37, v18, v32
	s_delay_alu instid0(VALU_DEP_1) | instskip(NEXT) | instid1(VALU_DEP_1)
	v_lshlrev_b32_e32 v18, v18, v37
	v_cmp_ne_u32_e64 s2, v18, v32
	v_lshl_or_b32 v32, v7, 12, v1
	s_wait_alu 0xfffd
	v_cndmask_b32_e64 v1, 0, 1, vcc_lo
	v_cmp_gt_i32_e32 vcc_lo, 1, v16
	s_wait_alu 0xf1ff
	v_cndmask_b32_e64 v18, 0, 1, s2
	v_cmp_gt_i32_e64 s2, 1, v7
	v_or_b32_e32 v1, v24, v1
	v_lshl_or_b32 v24, v16, 12, v11
	s_delay_alu instid0(VALU_DEP_4)
	v_or_b32_e32 v18, v37, v18
	scratch_load_b32 v37, off, off offset:136 th:TH_LOAD_LU ; 4-byte Folded Reload
	s_wait_alu 0xfffd
	v_cndmask_b32_e32 v1, v24, v1, vcc_lo
	v_cndmask_b32_e64 v24, 0, 1, s5
	s_wait_alu 0xf1ff
	v_cndmask_b32_e64 v18, v32, v18, s2
	s_delay_alu instid0(VALU_DEP_2) | instskip(NEXT) | instid1(VALU_DEP_2)
	v_lshl_or_b32 v24, v24, 9, 0x7c00
	v_and_b32_e32 v32, 7, v18
	v_lshrrev_b32_e32 v18, 2, v18
	s_delay_alu instid0(VALU_DEP_2) | instskip(SKIP_1) | instid1(VALU_DEP_1)
	v_cmp_lt_i32_e64 s2, 5, v32
	v_cmp_eq_u32_e64 s4, 3, v32
	s_or_b32 vcc_lo, s4, s2
	v_cmp_ne_u32_e64 s4, 0, v11
	s_wait_alu 0xfffe
	v_add_co_ci_u32_e32 v18, vcc_lo, 0, v18, vcc_lo
	v_cmp_gt_i32_e32 vcc_lo, 31, v7
	s_wait_alu 0xf1ff
	v_cndmask_b32_e64 v11, 0, 1, s4
	s_wait_alu 0xfffd
	v_cndmask_b32_e32 v18, 0x7c00, v18, vcc_lo
	v_cmp_eq_u32_e32 vcc_lo, 0x40f, v7
	s_delay_alu instid0(VALU_DEP_3) | instskip(SKIP_1) | instid1(VALU_DEP_3)
	v_lshl_or_b32 v11, v11, 9, 0x7c00
	s_wait_alu 0xfffd
	v_dual_cndmask_b32 v7, v18, v24 :: v_dual_and_b32 v24, 7, v1
	v_lshrrev_b32_e32 v1, 2, v1
	v_lshrrev_b32_e32 v18, 16, v33
	s_delay_alu instid0(VALU_DEP_3) | instskip(SKIP_1) | instid1(VALU_DEP_3)
	v_cmp_lt_i32_e32 vcc_lo, 5, v24
	v_cmp_eq_u32_e64 s2, 3, v24
	v_and_or_b32 v7, 0x8000, v18, v7
	s_delay_alu instid0(VALU_DEP_2) | instskip(NEXT) | instid1(VALU_DEP_1)
	s_or_b32 vcc_lo, s2, vcc_lo
	v_and_b32_e32 v7, 0xffff, v7
	s_wait_alu 0xfffe
	v_add_co_ci_u32_e32 v1, vcc_lo, 0, v1, vcc_lo
	v_cmp_gt_i32_e32 vcc_lo, 31, v16
	s_wait_alu 0xfffd
	s_delay_alu instid0(VALU_DEP_2) | instskip(SKIP_2) | instid1(VALU_DEP_2)
	v_cndmask_b32_e32 v1, 0x7c00, v1, vcc_lo
	v_cmp_eq_u32_e32 vcc_lo, 0x40f, v16
	s_wait_alu 0xfffd
	v_cndmask_b32_e32 v1, v1, v11, vcc_lo
	v_lshrrev_b32_e32 v11, 16, v17
	s_delay_alu instid0(VALU_DEP_1) | instskip(NEXT) | instid1(VALU_DEP_1)
	v_and_or_b32 v1, 0x8000, v11, v1
	v_lshl_or_b32 v1, v1, 16, v7
	global_store_b32 v[28:29], v1, off
	v_cvt_f32_f16_e32 v1, v36
	v_add_co_u32 v28, vcc_lo, v28, s12
	s_wait_alu 0xfffd
	v_add_co_ci_u32_e32 v29, vcc_lo, s13, v29, vcc_lo
	s_delay_alu instid0(VALU_DEP_3) | instskip(NEXT) | instid1(VALU_DEP_1)
	v_cvt_f64_f32_e32 v[16:17], v1
	v_mul_f64_e32 v[17:18], s[10:11], v[16:17]
	s_delay_alu instid0(VALU_DEP_1) | instskip(SKIP_3) | instid1(VALU_DEP_4)
	v_and_or_b32 v1, 0x1ff, v18, v17
	v_lshrrev_b32_e32 v7, 8, v18
	v_bfe_u32 v33, v18, 20, 11
	v_lshrrev_b32_e32 v18, 16, v18
	v_cmp_ne_u32_e32 vcc_lo, 0, v1
	s_wait_alu 0xfffd
	v_cndmask_b32_e64 v1, 0, 1, vcc_lo
	s_delay_alu instid0(VALU_DEP_1) | instskip(SKIP_1) | instid1(VALU_DEP_2)
	v_and_or_b32 v32, 0xffe, v7, v1
	v_sub_nc_u32_e32 v1, 0x3f1, v33
	v_or_b32_e32 v7, 0x1000, v32
	s_delay_alu instid0(VALU_DEP_2) | instskip(NEXT) | instid1(VALU_DEP_1)
	v_med3_i32 v1, v1, 0, 13
	v_lshrrev_b32_e32 v36, v1, v7
	s_delay_alu instid0(VALU_DEP_1) | instskip(NEXT) | instid1(VALU_DEP_1)
	v_lshlrev_b32_e32 v1, v1, v36
	v_cmp_ne_u32_e64 s2, v1, v7
	v_mul_f16_e32 v1, v41, v5
	s_delay_alu instid0(VALU_DEP_1) | instskip(SKIP_2) | instid1(VALU_DEP_1)
	v_fmac_f16_e32 v1, v38, v13
	scratch_load_b32 v38, off, off offset:140 th:TH_LOAD_LU ; 4-byte Folded Reload
	v_cvt_f32_f16_e32 v1, v1
	v_cvt_f64_f32_e32 v[16:17], v1
	s_delay_alu instid0(VALU_DEP_1) | instskip(NEXT) | instid1(VALU_DEP_1)
	v_mul_f64_e32 v[16:17], s[10:11], v[16:17]
	v_and_or_b32 v1, 0x1ff, v17, v16
	v_lshrrev_b32_e32 v5, 8, v17
	s_delay_alu instid0(VALU_DEP_2) | instskip(SKIP_2) | instid1(VALU_DEP_1)
	v_cmp_ne_u32_e32 vcc_lo, 0, v1
	s_wait_alu 0xfffd
	v_cndmask_b32_e64 v1, 0, 1, vcc_lo
	v_and_or_b32 v1, 0xffe, v5, v1
	v_bfe_u32 v5, v17, 20, 11
	s_delay_alu instid0(VALU_DEP_2) | instskip(NEXT) | instid1(VALU_DEP_2)
	v_or_b32_e32 v11, 0x1000, v1
	v_sub_nc_u32_e32 v7, 0x3f1, v5
	v_add_nc_u32_e32 v5, 0xfffffc10, v5
	v_cmp_ne_u32_e64 s5, 0, v1
	s_delay_alu instid0(VALU_DEP_3) | instskip(NEXT) | instid1(VALU_DEP_1)
	v_med3_i32 v7, v7, 0, 13
	v_lshrrev_b32_e32 v13, v7, v11
	s_delay_alu instid0(VALU_DEP_1) | instskip(NEXT) | instid1(VALU_DEP_1)
	v_lshlrev_b32_e32 v7, v7, v13
	v_cmp_ne_u32_e32 vcc_lo, v7, v11
	v_lshl_or_b32 v11, v5, 12, v1
	v_cndmask_b32_e64 v1, 0, 1, s3
	s_wait_alu 0xfffd
	v_cndmask_b32_e64 v7, 0, 1, vcc_lo
	v_cmp_gt_i32_e32 vcc_lo, 1, v5
	s_delay_alu instid0(VALU_DEP_3) | instskip(NEXT) | instid1(VALU_DEP_3)
	v_or_b32_e32 v1, v35, v1
	v_or_b32_e32 v7, v13, v7
	s_wait_alu 0xfffd
	s_delay_alu instid0(VALU_DEP_1) | instskip(NEXT) | instid1(VALU_DEP_1)
	v_cndmask_b32_e32 v7, v11, v7, vcc_lo
	v_and_b32_e32 v11, 7, v7
	v_lshrrev_b32_e32 v7, 2, v7
	s_delay_alu instid0(VALU_DEP_2) | instskip(SKIP_2) | instid1(VALU_DEP_2)
	v_cmp_lt_i32_e32 vcc_lo, 5, v11
	v_cmp_eq_u32_e64 s4, 3, v11
	v_add_nc_u32_e32 v11, 0xfffffc10, v34
	s_or_b32 vcc_lo, s4, vcc_lo
	s_delay_alu instid0(VALU_DEP_1)
	v_lshl_or_b32 v13, v11, 12, v30
	v_cmp_gt_i32_e64 s3, 1, v11
	s_wait_alu 0xfffe
	v_add_co_ci_u32_e32 v7, vcc_lo, 0, v7, vcc_lo
	v_cmp_gt_i32_e32 vcc_lo, 31, v5
	v_cmp_ne_u32_e64 s4, 0, v30
	s_wait_alu 0xf1ff
	v_cndmask_b32_e64 v1, v13, v1, s3
	v_cndmask_b32_e64 v13, 0, 1, s5
	s_wait_alu 0xfffd
	v_cndmask_b32_e32 v7, 0x7c00, v7, vcc_lo
	v_cmp_eq_u32_e32 vcc_lo, 0x40f, v5
	s_delay_alu instid0(VALU_DEP_3) | instskip(SKIP_1) | instid1(VALU_DEP_1)
	v_lshl_or_b32 v13, v13, 9, 0x7c00
	s_wait_alu 0xfffd
	v_cndmask_b32_e32 v5, v7, v13, vcc_lo
	v_and_b32_e32 v13, 7, v1
	v_lshrrev_b32_e32 v1, 2, v1
	v_lshrrev_b32_e32 v7, 16, v17
	s_delay_alu instid0(VALU_DEP_3) | instskip(SKIP_2) | instid1(VALU_DEP_4)
	v_cmp_lt_i32_e32 vcc_lo, 5, v13
	v_cmp_eq_u32_e64 s3, 3, v13
	v_cndmask_b32_e64 v13, 0, 1, s4
	v_and_or_b32 v5, 0x8000, v7, v5
	scratch_load_b32 v7, off, off offset:148 th:TH_LOAD_LU ; 4-byte Folded Reload
	s_or_b32 vcc_lo, s3, vcc_lo
	v_lshl_or_b32 v13, v13, 9, 0x7c00
	s_wait_alu 0xfffe
	v_add_co_ci_u32_e32 v1, vcc_lo, 0, v1, vcc_lo
	v_cmp_gt_i32_e32 vcc_lo, 31, v11
	v_and_b32_e32 v5, 0xffff, v5
	s_wait_alu 0xfffd
	s_delay_alu instid0(VALU_DEP_3) | instskip(SKIP_3) | instid1(VALU_DEP_3)
	v_cndmask_b32_e32 v1, 0x7c00, v1, vcc_lo
	v_cmp_eq_u32_e32 vcc_lo, 0x40f, v11
	v_lshrrev_b32_e32 v11, 16, v31
	s_wait_alu 0xfffd
	v_cndmask_b32_e32 v1, v1, v13, vcc_lo
	s_delay_alu instid0(VALU_DEP_1)
	v_and_or_b32 v1, 0x8000, v11, v1
	scratch_load_b32 v11, off, off offset:144 th:TH_LOAD_LU ; 4-byte Folded Reload
	v_lshl_or_b32 v1, v1, 16, v5
	global_store_b32 v[28:29], v1, off
	v_lshrrev_b32_e32 v1, 16, v12
	v_add_co_u32 v28, vcc_lo, v28, s12
	s_wait_alu 0xfffd
	v_add_co_ci_u32_e32 v29, vcc_lo, s13, v29, vcc_lo
	s_wait_loadcnt 0x1
	v_mul_f16_e32 v5, v7, v1
	v_mul_f16_e32 v7, v7, v12
	s_wait_loadcnt 0x0
	s_delay_alu instid0(VALU_DEP_2) | instskip(NEXT) | instid1(VALU_DEP_2)
	v_fmac_f16_e32 v5, v11, v12
	v_fma_f16 v24, v11, v1, -v7
	ds_load_2addr_b32 v[11:12], v153 offset0:28 offset1:163
	v_cvt_f32_f16_e32 v5, v5
	s_wait_dscnt 0x0
	v_lshrrev_b32_e32 v13, 16, v11
	v_mul_f16_e32 v1, v38, v11
	s_delay_alu instid0(VALU_DEP_1) | instskip(NEXT) | instid1(VALU_DEP_1)
	v_fma_f16 v1, v37, v13, -v1
	v_cvt_f32_f16_e32 v1, v1
	s_delay_alu instid0(VALU_DEP_1) | instskip(NEXT) | instid1(VALU_DEP_1)
	v_cvt_f64_f32_e32 v[16:17], v1
	v_mul_f64_e32 v[16:17], s[10:11], v[16:17]
	s_delay_alu instid0(VALU_DEP_1) | instskip(SKIP_1) | instid1(VALU_DEP_2)
	v_and_or_b32 v1, 0x1ff, v17, v16
	v_lshrrev_b32_e32 v7, 8, v17
	v_cmp_ne_u32_e32 vcc_lo, 0, v1
	s_wait_alu 0xfffd
	v_cndmask_b32_e64 v1, 0, 1, vcc_lo
	s_delay_alu instid0(VALU_DEP_1) | instskip(SKIP_1) | instid1(VALU_DEP_2)
	v_and_or_b32 v1, 0xffe, v7, v1
	v_bfe_u32 v7, v17, 20, 11
	v_or_b32_e32 v31, 0x1000, v1
	s_delay_alu instid0(VALU_DEP_2) | instskip(SKIP_1) | instid1(VALU_DEP_2)
	v_sub_nc_u32_e32 v16, 0x3f1, v7
	v_add_nc_u32_e32 v7, 0xfffffc10, v7
	v_med3_i32 v30, v16, 0, 13
	s_delay_alu instid0(VALU_DEP_1) | instskip(NEXT) | instid1(VALU_DEP_1)
	v_lshrrev_b32_e32 v16, v30, v31
	v_lshlrev_b32_e32 v30, v30, v16
	s_delay_alu instid0(VALU_DEP_1) | instskip(SKIP_1) | instid1(VALU_DEP_1)
	v_cmp_ne_u32_e32 vcc_lo, v30, v31
	v_cvt_f64_f32_e32 v[30:31], v3
	v_mul_f64_e32 v[30:31], s[10:11], v[30:31]
	s_delay_alu instid0(VALU_DEP_1) | instskip(SKIP_1) | instid1(VALU_DEP_2)
	v_and_or_b32 v3, 0x1ff, v31, v30
	v_lshrrev_b32_e32 v27, 8, v31
	v_cmp_ne_u32_e64 s3, 0, v3
	s_wait_alu 0xf1ff
	s_delay_alu instid0(VALU_DEP_1) | instskip(NEXT) | instid1(VALU_DEP_1)
	v_cndmask_b32_e64 v3, 0, 1, s3
	v_and_or_b32 v3, 0xffe, v27, v3
	v_bfe_u32 v27, v31, 20, 11
	s_delay_alu instid0(VALU_DEP_2) | instskip(NEXT) | instid1(VALU_DEP_2)
	v_or_b32_e32 v34, 0x1000, v3
	v_sub_nc_u32_e32 v30, 0x3f1, v27
	v_add_nc_u32_e32 v27, 0xfffffc10, v27
	v_cmp_ne_u32_e64 s5, 0, v3
	s_delay_alu instid0(VALU_DEP_3) | instskip(NEXT) | instid1(VALU_DEP_1)
	v_med3_i32 v30, v30, 0, 13
	v_lshrrev_b32_e32 v35, v30, v34
	s_delay_alu instid0(VALU_DEP_1) | instskip(NEXT) | instid1(VALU_DEP_1)
	v_lshlrev_b32_e32 v30, v30, v35
	v_cmp_ne_u32_e64 s3, v30, v34
	v_lshl_or_b32 v34, v27, 12, v3
	v_cndmask_b32_e64 v3, 0, 1, s0
	v_cmp_gt_i32_e64 s0, 1, v22
	s_wait_alu 0xf1ff
	v_cndmask_b32_e64 v30, 0, 1, s3
	v_cmp_gt_i32_e64 s3, 1, v27
	v_or_b32_e32 v3, v23, v3
	v_lshl_or_b32 v23, v22, 12, v9
	s_delay_alu instid0(VALU_DEP_4) | instskip(SKIP_4) | instid1(VALU_DEP_1)
	v_or_b32_e32 v30, v35, v30
	scratch_load_b32 v35, off, off offset:108 th:TH_LOAD_LU ; 4-byte Folded Reload
	v_cndmask_b32_e64 v3, v23, v3, s0
	s_wait_alu 0xf1ff
	v_cndmask_b32_e64 v30, v34, v30, s3
	v_and_b32_e32 v34, 7, v30
	v_lshrrev_b32_e32 v23, 2, v30
	v_cndmask_b32_e64 v30, 0, 1, s5
	s_delay_alu instid0(VALU_DEP_3) | instskip(SKIP_1) | instid1(VALU_DEP_3)
	v_cmp_lt_i32_e64 s3, 5, v34
	v_cmp_eq_u32_e64 s4, 3, v34
	v_lshl_or_b32 v30, v30, 9, 0x7c00
	scratch_load_b32 v34, off, off offset:104 th:TH_LOAD_LU ; 4-byte Folded Reload
	s_or_b32 s0, s4, s3
	v_cmp_ne_u32_e64 s4, 0, v9
	s_wait_alu 0xfffe
	v_add_co_ci_u32_e64 v23, s0, 0, v23, s0
	v_cmp_gt_i32_e64 s0, 31, v27
	v_cndmask_b32_e64 v9, 0, 1, s1
	s_wait_alu 0xf1ff
	s_delay_alu instid0(VALU_DEP_2)
	v_cndmask_b32_e64 v23, 0x7c00, v23, s0
	v_cmp_eq_u32_e64 s0, 0x40f, v27
	v_and_b32_e32 v27, 7, v3
	v_lshrrev_b32_e32 v3, 2, v3
	v_or_b32_e32 v9, v26, v9
	v_cndmask_b32_e64 v26, 0, 1, s4
	s_wait_alu 0xf1ff
	v_cndmask_b32_e64 v23, v23, v30, s0
	v_cmp_lt_i32_e64 s0, 5, v27
	v_cmp_eq_u32_e64 s3, 3, v27
	v_lshrrev_b32_e32 v27, 16, v31
	v_lshl_or_b32 v26, v26, 9, 0x7c00
	s_delay_alu instid0(VALU_DEP_3) | instskip(NEXT) | instid1(VALU_DEP_2)
	s_or_b32 s0, s3, s0
	v_and_or_b32 v23, 0x8000, v27, v23
	s_wait_alu 0xfffe
	v_add_co_ci_u32_e64 v3, s0, 0, v3, s0
	v_cmp_gt_i32_e64 s0, 31, v22
	v_cmp_ne_u32_e64 s3, 0, v20
	s_wait_alu 0xf1ff
	s_delay_alu instid0(VALU_DEP_2) | instskip(SKIP_3) | instid1(VALU_DEP_2)
	v_cndmask_b32_e64 v3, 0x7c00, v3, s0
	v_cmp_eq_u32_e64 s0, 0x40f, v22
	v_add_nc_u32_e32 v22, 0xfffffc10, v25
	s_wait_alu 0xf1ff
	v_cndmask_b32_e64 v3, v3, v26, s0
	s_delay_alu instid0(VALU_DEP_2)
	v_lshl_or_b32 v25, v22, 12, v20
	v_cmp_gt_i32_e64 s0, 1, v22
	v_add_nc_u32_e32 v20, 0xfffffc10, v33
	scratch_load_b32 v33, off, off offset:120 th:TH_LOAD_LU ; 4-byte Folded Reload
	v_and_or_b32 v3, 0x8000, v19, v3
	s_wait_alu 0xf1ff
	v_cndmask_b32_e64 v9, v25, v9, s0
	s_delay_alu instid0(VALU_DEP_1) | instskip(SKIP_1) | instid1(VALU_DEP_2)
	v_and_b32_e32 v19, 7, v9
	v_lshrrev_b32_e32 v9, 2, v9
	v_cmp_lt_i32_e64 s0, 5, v19
	v_cmp_eq_u32_e64 s1, 3, v19
	v_and_b32_e32 v19, 0xffff, v23
	v_lshl_or_b32 v23, v20, 12, v32
	s_delay_alu instid0(VALU_DEP_3) | instskip(NEXT) | instid1(VALU_DEP_2)
	s_or_b32 s0, s1, s0
	v_lshl_or_b32 v3, v3, 16, v19
	v_cndmask_b32_e64 v19, 0, 1, s2
	v_cmp_gt_i32_e64 s2, 1, v20
	s_wait_alu 0xfffe
	v_add_co_ci_u32_e64 v9, s0, 0, v9, s0
	v_cmp_gt_i32_e64 s0, 31, v22
	v_or_b32_e32 v19, v36, v19
	global_store_b32 v[28:29], v3, off
	scratch_load_b32 v36, off, off offset:124 th:TH_LOAD_LU ; 4-byte Folded Reload
	s_wait_alu 0xf1ff
	v_cndmask_b32_e64 v9, 0x7c00, v9, s0
	v_cndmask_b32_e64 v19, v23, v19, s2
	;; [unrolled: 1-line block ×3, first 2 shown]
	v_cmp_eq_u32_e64 s0, 0x40f, v22
	v_cmp_ne_u32_e64 s2, 0, v32
	v_cmp_gt_i32_e64 s3, 1, v7
	v_and_b32_e32 v22, 7, v19
	v_lshl_or_b32 v23, v23, 9, 0x7c00
	v_lshrrev_b32_e32 v19, 2, v19
	s_delay_alu instid0(VALU_DEP_3) | instskip(SKIP_1) | instid1(VALU_DEP_3)
	v_cmp_eq_u32_e64 s1, 3, v22
	s_wait_alu 0xf1ff
	v_cndmask_b32_e64 v9, v9, v23, s0
	v_cmp_lt_i32_e64 s0, 5, v22
	v_cndmask_b32_e64 v22, 0, 1, s2
	s_delay_alu instid0(VALU_DEP_3) | instskip(NEXT) | instid1(VALU_DEP_3)
	v_and_or_b32 v9, 0x8000, v21, v9
	s_or_b32 s0, s1, s0
	s_delay_alu instid0(VALU_DEP_2)
	v_lshl_or_b32 v22, v22, 9, 0x7c00
	s_wait_alu 0xfffe
	v_add_co_ci_u32_e64 v19, s0, 0, v19, s0
	v_cmp_gt_i32_e64 s0, 31, v20
	v_and_b32_e32 v9, 0xffff, v9
	s_wait_alu 0xf1ff
	s_delay_alu instid0(VALU_DEP_2) | instskip(SKIP_2) | instid1(VALU_DEP_1)
	v_cndmask_b32_e64 v19, 0x7c00, v19, s0
	v_cmp_eq_u32_e64 s0, 0x40f, v20
	s_wait_alu 0xf1ff
	v_cndmask_b32_e64 v19, v19, v22, s0
	s_mul_i32 s0, s9, 0xffffc928
	scratch_load_b32 v22, off, off offset:128 th:TH_LOAD_LU ; 4-byte Folded Reload
	s_wait_alu 0xfffe
	s_sub_co_i32 s9, s0, s8
	v_and_or_b32 v3, 0x8000, v18, v19
	v_mad_co_u64_u32 v[18:19], null, 0xffffc928, s8, v[28:29]
	s_delay_alu instid0(VALU_DEP_2) | instskip(SKIP_1) | instid1(VALU_DEP_2)
	v_lshl_or_b32 v3, v3, 16, v9
	s_wait_alu 0xfffe
	v_add_nc_u32_e32 v19, s9, v19
	global_store_b32 v[18:19], v3, off
	v_cvt_f32_f16_e32 v3, v24
	v_add_co_u32 v18, s0, v18, s12
	s_wait_alu 0xf1ff
	v_add_co_ci_u32_e64 v19, s0, s13, v19, s0
	s_delay_alu instid0(VALU_DEP_3) | instskip(NEXT) | instid1(VALU_DEP_1)
	v_cvt_f64_f32_e32 v[20:21], v3
	v_mul_f64_e32 v[20:21], s[10:11], v[20:21]
	s_delay_alu instid0(VALU_DEP_1)
	v_and_or_b32 v3, 0x1ff, v21, v20
	scratch_load_b32 v20, off, off offset:132 th:TH_LOAD_LU ; 4-byte Folded Reload
	v_lshrrev_b32_e32 v9, 8, v21
	v_bfe_u32 v25, v21, 20, 11
	v_lshrrev_b32_e32 v21, 16, v21
	v_cmp_ne_u32_e64 s0, 0, v3
	s_wait_alu 0xf1ff
	s_delay_alu instid0(VALU_DEP_1) | instskip(NEXT) | instid1(VALU_DEP_1)
	v_cndmask_b32_e64 v3, 0, 1, s0
	v_and_or_b32 v24, 0xffe, v9, v3
	v_sub_nc_u32_e32 v3, 0x3f1, v25
	s_delay_alu instid0(VALU_DEP_2) | instskip(NEXT) | instid1(VALU_DEP_2)
	v_or_b32_e32 v9, 0x1000, v24
	v_med3_i32 v3, v3, 0, 13
	s_delay_alu instid0(VALU_DEP_1) | instskip(NEXT) | instid1(VALU_DEP_1)
	v_lshrrev_b32_e32 v26, v3, v9
	v_lshlrev_b32_e32 v3, v3, v26
	s_delay_alu instid0(VALU_DEP_1) | instskip(SKIP_2) | instid1(VALU_DEP_1)
	v_cmp_ne_u32_e64 s1, v3, v9
	v_lshrrev_b32_e32 v9, 16, v10
	s_wait_loadcnt 0x0
	v_mul_f16_e32 v3, v20, v9
	v_mul_f16_e32 v20, v20, v10
	s_delay_alu instid0(VALU_DEP_2) | instskip(NEXT) | instid1(VALU_DEP_2)
	v_fmac_f16_e32 v3, v22, v10
	v_fma_f16 v22, v22, v9, -v20
	v_mul_f16_e32 v9, v38, v13
	scratch_load_b32 v38, off, off offset:92 th:TH_LOAD_LU ; 4-byte Folded Reload
	v_cvt_f32_f16_e32 v3, v3
	v_fmac_f16_e32 v9, v37, v11
	scratch_load_b32 v37, off, off offset:88 th:TH_LOAD_LU ; 4-byte Folded Reload
	v_cvt_f32_f16_e32 v9, v9
	s_delay_alu instid0(VALU_DEP_1) | instskip(NEXT) | instid1(VALU_DEP_1)
	v_cvt_f64_f32_e32 v[9:10], v9
	v_mul_f64_e32 v[9:10], s[10:11], v[9:10]
	s_delay_alu instid0(VALU_DEP_1) | instskip(SKIP_1) | instid1(VALU_DEP_2)
	v_and_or_b32 v9, 0x1ff, v10, v9
	v_lshrrev_b32_e32 v11, 8, v10
	v_cmp_ne_u32_e64 s0, 0, v9
	s_wait_alu 0xf1ff
	s_delay_alu instid0(VALU_DEP_1) | instskip(NEXT) | instid1(VALU_DEP_1)
	v_cndmask_b32_e64 v9, 0, 1, s0
	v_and_or_b32 v9, 0xffe, v11, v9
	v_bfe_u32 v11, v10, 20, 11
	v_lshrrev_b32_e32 v10, 16, v10
	s_delay_alu instid0(VALU_DEP_3) | instskip(NEXT) | instid1(VALU_DEP_3)
	v_or_b32_e32 v20, 0x1000, v9
	v_sub_nc_u32_e32 v13, 0x3f1, v11
	v_add_nc_u32_e32 v11, 0xfffffc10, v11
	s_delay_alu instid0(VALU_DEP_2) | instskip(NEXT) | instid1(VALU_DEP_1)
	v_med3_i32 v13, v13, 0, 13
	v_lshrrev_b32_e32 v23, v13, v20
	s_delay_alu instid0(VALU_DEP_1) | instskip(NEXT) | instid1(VALU_DEP_1)
	v_lshlrev_b32_e32 v13, v13, v23
	v_cmp_ne_u32_e64 s0, v13, v20
	v_lshl_or_b32 v20, v11, 12, v9
	s_wait_alu 0xf1ff
	s_delay_alu instid0(VALU_DEP_2) | instskip(SKIP_1) | instid1(VALU_DEP_2)
	v_cndmask_b32_e64 v13, 0, 1, s0
	v_cmp_gt_i32_e64 s0, 1, v11
	v_or_b32_e32 v13, v23, v13
	scratch_load_b32 v23, off, off offset:112 th:TH_LOAD_LU ; 4-byte Folded Reload
	s_wait_alu 0xf1ff
	v_cndmask_b32_e64 v13, v20, v13, s0
	s_delay_alu instid0(VALU_DEP_1) | instskip(SKIP_1) | instid1(VALU_DEP_2)
	v_and_b32_e32 v20, 7, v13
	v_lshrrev_b32_e32 v13, 2, v13
	v_cmp_lt_i32_e64 s0, 5, v20
	v_cmp_eq_u32_e64 s2, 3, v20
	s_wait_alu 0xfffd
	v_cndmask_b32_e64 v20, 0, 1, vcc_lo
	v_cmp_ne_u32_e32 vcc_lo, 0, v9
	v_lshl_or_b32 v9, v7, 12, v1
	s_or_b32 s0, s2, s0
	s_delay_alu instid0(VALU_DEP_3)
	v_or_b32_e32 v16, v16, v20
	s_wait_alu 0xfffe
	v_add_co_ci_u32_e64 v13, s0, 0, v13, s0
	v_cmp_gt_i32_e64 s0, 31, v11
	v_cmp_ne_u32_e64 s2, 0, v1
	v_cndmask_b32_e64 v9, v9, v16, s3
	s_wait_alu 0xfffd
	v_cndmask_b32_e64 v16, 0, 1, vcc_lo
	v_cmp_eq_u32_e32 vcc_lo, 0x40f, v11
	s_wait_alu 0xf1ff
	v_cndmask_b32_e64 v13, 0x7c00, v13, s0
	v_lshrrev_b32_e32 v1, 2, v9
	v_lshl_or_b32 v16, v16, 9, 0x7c00
	s_wait_alu 0xfffd
	s_delay_alu instid0(VALU_DEP_1) | instskip(SKIP_2) | instid1(VALU_DEP_2)
	v_cndmask_b32_e32 v11, v13, v16, vcc_lo
	v_and_b32_e32 v13, 7, v9
	v_cndmask_b32_e64 v9, 0, 1, s2
	v_cmp_lt_i32_e32 vcc_lo, 5, v13
	v_cmp_eq_u32_e64 s0, 3, v13
	s_delay_alu instid0(VALU_DEP_3) | instskip(NEXT) | instid1(VALU_DEP_2)
	v_lshl_or_b32 v9, v9, 9, 0x7c00
	s_or_b32 vcc_lo, s0, vcc_lo
	s_wait_alu 0xfffe
	v_add_co_ci_u32_e32 v1, vcc_lo, 0, v1, vcc_lo
	v_cmp_gt_i32_e32 vcc_lo, 31, v7
	s_wait_alu 0xfffd
	s_delay_alu instid0(VALU_DEP_2)
	v_cndmask_b32_e32 v1, 0x7c00, v1, vcc_lo
	v_cmp_eq_u32_e32 vcc_lo, 0x40f, v7
	v_lshrrev_b32_e32 v7, 16, v17
	ds_load_2addr_b32 v[16:17], v209 offset0:70 offset1:205
	s_wait_alu 0xfffd
	v_cndmask_b32_e32 v1, v1, v9, vcc_lo
	v_and_or_b32 v9, 0x8000, v10, v11
	v_add_co_u32 v10, vcc_lo, v18, s12
	s_wait_alu 0xfffd
	v_add_co_ci_u32_e32 v11, vcc_lo, s13, v19, vcc_lo
	v_and_or_b32 v1, 0x8000, v7, v1
	v_and_b32_e32 v7, 0xffff, v9
	s_delay_alu instid0(VALU_DEP_1) | instskip(SKIP_4) | instid1(VALU_DEP_1)
	v_lshl_or_b32 v1, v1, 16, v7
	global_store_b32 v[18:19], v1, off
	s_wait_dscnt 0x0
	v_lshrrev_b32_e32 v27, 16, v16
	v_mul_f16_e32 v1, v36, v16
	v_fma_f16 v1, v33, v27, -v1
	s_delay_alu instid0(VALU_DEP_1) | instskip(NEXT) | instid1(VALU_DEP_1)
	v_cvt_f32_f16_e32 v1, v1
	v_cvt_f64_f32_e32 v[18:19], v1
	s_delay_alu instid0(VALU_DEP_1) | instskip(NEXT) | instid1(VALU_DEP_1)
	v_mul_f64_e32 v[19:20], s[10:11], v[18:19]
	v_and_or_b32 v1, 0x1ff, v20, v19
	v_lshrrev_b32_e32 v7, 8, v20
	v_bfe_u32 v29, v20, 20, 11
	s_delay_alu instid0(VALU_DEP_3) | instskip(SKIP_2) | instid1(VALU_DEP_1)
	v_cmp_ne_u32_e32 vcc_lo, 0, v1
	s_wait_alu 0xfffd
	v_cndmask_b32_e64 v1, 0, 1, vcc_lo
	v_and_or_b32 v28, 0xffe, v7, v1
	v_sub_nc_u32_e32 v1, 0x3f1, v29
	s_delay_alu instid0(VALU_DEP_2) | instskip(NEXT) | instid1(VALU_DEP_2)
	v_or_b32_e32 v7, 0x1000, v28
	v_med3_i32 v1, v1, 0, 13
	s_delay_alu instid0(VALU_DEP_1) | instskip(NEXT) | instid1(VALU_DEP_1)
	v_lshrrev_b32_e32 v30, v1, v7
	v_lshlrev_b32_e32 v1, v1, v30
	s_delay_alu instid0(VALU_DEP_1) | instskip(SKIP_3) | instid1(VALU_DEP_1)
	v_cmp_ne_u32_e64 s0, v1, v7
	v_cvt_f32_f16_e32 v1, v22
	scratch_load_b32 v22, off, off offset:116 th:TH_LOAD_LU ; 4-byte Folded Reload
	v_cvt_f64_f32_e32 v[18:19], v1
	v_mul_f64_e32 v[18:19], s[10:11], v[18:19]
	s_delay_alu instid0(VALU_DEP_1) | instskip(SKIP_2) | instid1(VALU_DEP_3)
	v_and_or_b32 v1, 0x1ff, v19, v18
	v_lshrrev_b32_e32 v7, 8, v19
	v_bfe_u32 v9, v19, 20, 11
	v_cmp_ne_u32_e32 vcc_lo, 0, v1
	s_wait_alu 0xfffd
	v_cndmask_b32_e64 v1, 0, 1, vcc_lo
	s_delay_alu instid0(VALU_DEP_1) | instskip(SKIP_1) | instid1(VALU_DEP_2)
	v_and_or_b32 v7, 0xffe, v7, v1
	v_sub_nc_u32_e32 v1, 0x3f1, v9
	v_or_b32_e32 v18, 0x1000, v7
	s_delay_alu instid0(VALU_DEP_2) | instskip(NEXT) | instid1(VALU_DEP_1)
	v_med3_i32 v1, v1, 0, 13
	v_lshrrev_b32_e32 v13, v1, v18
	s_delay_alu instid0(VALU_DEP_1) | instskip(NEXT) | instid1(VALU_DEP_1)
	v_lshlrev_b32_e32 v1, v1, v13
	v_cmp_ne_u32_e32 vcc_lo, v1, v18
	v_lshrrev_b32_e32 v18, 16, v15
	s_wait_loadcnt 0x0
	s_delay_alu instid0(VALU_DEP_1) | instskip(SKIP_1) | instid1(VALU_DEP_2)
	v_mul_f16_e32 v1, v22, v18
	v_mul_f16_e32 v22, v22, v15
	v_fmac_f16_e32 v1, v23, v15
	s_delay_alu instid0(VALU_DEP_2) | instskip(SKIP_1) | instid1(VALU_DEP_3)
	v_fma_f16 v31, v23, v18, -v22
	v_cvt_f64_f32_e32 v[22:23], v5
	v_cvt_f32_f16_e32 v1, v1
	s_delay_alu instid0(VALU_DEP_2) | instskip(NEXT) | instid1(VALU_DEP_1)
	v_mul_f64_e32 v[22:23], s[10:11], v[22:23]
	v_and_or_b32 v5, 0x1ff, v23, v22
	v_lshrrev_b32_e32 v15, 8, v23
	s_delay_alu instid0(VALU_DEP_2) | instskip(SKIP_1) | instid1(VALU_DEP_1)
	v_cmp_ne_u32_e64 s2, 0, v5
	s_wait_alu 0xf1ff
	v_cndmask_b32_e64 v5, 0, 1, s2
	s_delay_alu instid0(VALU_DEP_1) | instskip(SKIP_1) | instid1(VALU_DEP_2)
	v_and_or_b32 v5, 0xffe, v15, v5
	v_bfe_u32 v15, v23, 20, 11
	v_or_b32_e32 v22, 0x1000, v5
	s_delay_alu instid0(VALU_DEP_2) | instskip(SKIP_1) | instid1(VALU_DEP_2)
	v_sub_nc_u32_e32 v18, 0x3f1, v15
	v_add_nc_u32_e32 v15, 0xfffffc10, v15
	v_med3_i32 v18, v18, 0, 13
	s_delay_alu instid0(VALU_DEP_1) | instskip(NEXT) | instid1(VALU_DEP_1)
	v_lshrrev_b32_e32 v32, v18, v22
	v_lshlrev_b32_e32 v18, v18, v32
	s_delay_alu instid0(VALU_DEP_1) | instskip(SKIP_2) | instid1(VALU_DEP_2)
	v_cmp_ne_u32_e64 s2, v18, v22
	v_lshl_or_b32 v22, v15, 12, v5
	s_wait_alu 0xf1ff
	v_cndmask_b32_e64 v18, 0, 1, s2
	v_cmp_gt_i32_e64 s2, 1, v15
	s_delay_alu instid0(VALU_DEP_2) | instskip(SKIP_1) | instid1(VALU_DEP_1)
	v_or_b32_e32 v18, v32, v18
	s_wait_alu 0xf1ff
	v_cndmask_b32_e64 v18, v22, v18, s2
	s_delay_alu instid0(VALU_DEP_1) | instskip(SKIP_1) | instid1(VALU_DEP_2)
	v_and_b32_e32 v22, 7, v18
	v_lshrrev_b32_e32 v18, 2, v18
	v_cmp_lt_i32_e64 s2, 5, v22
	v_cmp_eq_u32_e64 s3, 3, v22
	v_cndmask_b32_e64 v22, 0, 1, s1
	v_cmp_ne_u32_e64 s1, 0, v5
	v_add_nc_u32_e32 v5, 0xfffffc10, v25
	s_delay_alu instid0(VALU_DEP_4) | instskip(NEXT) | instid1(VALU_DEP_3)
	s_or_b32 s2, s3, s2
	v_or_b32_e32 v22, v26, v22
	s_wait_alu 0xfffe
	v_add_co_ci_u32_e64 v18, s2, 0, v18, s2
	v_lshl_or_b32 v25, v5, 12, v24
	v_cmp_gt_i32_e64 s4, 1, v5
	v_cmp_gt_i32_e64 s2, 31, v15
	v_cmp_ne_u32_e64 s3, 0, v24
	s_wait_alu 0xf1ff
	s_delay_alu instid0(VALU_DEP_3) | instskip(SKIP_3) | instid1(VALU_DEP_3)
	v_cndmask_b32_e64 v22, v25, v22, s4
	v_cndmask_b32_e64 v25, 0, 1, s1
	;; [unrolled: 1-line block ×3, first 2 shown]
	v_cmp_eq_u32_e64 s1, 0x40f, v15
	v_lshl_or_b32 v25, v25, 9, 0x7c00
	s_wait_alu 0xf1ff
	s_delay_alu instid0(VALU_DEP_1) | instskip(SKIP_3) | instid1(VALU_DEP_3)
	v_cndmask_b32_e64 v15, v18, v25, s1
	v_lshrrev_b32_e32 v18, 16, v23
	v_and_b32_e32 v23, 7, v22
	v_lshrrev_b32_e32 v22, 2, v22
	v_and_or_b32 v15, 0x8000, v18, v15
	s_delay_alu instid0(VALU_DEP_3) | instskip(SKIP_2) | instid1(VALU_DEP_4)
	v_cmp_lt_i32_e64 s1, 5, v23
	v_cmp_eq_u32_e64 s2, 3, v23
	v_cndmask_b32_e64 v23, 0, 1, s3
	v_and_b32_e32 v15, 0xffff, v15
	s_delay_alu instid0(VALU_DEP_3) | instskip(NEXT) | instid1(VALU_DEP_2)
	s_or_b32 s1, s2, s1
	v_lshl_or_b32 v23, v23, 9, 0x7c00
	s_wait_alu 0xfffe
	v_add_co_ci_u32_e64 v22, s1, 0, v22, s1
	v_cmp_gt_i32_e64 s1, 31, v5
	s_wait_alu 0xf1ff
	s_delay_alu instid0(VALU_DEP_1) | instskip(SKIP_2) | instid1(VALU_DEP_1)
	v_cndmask_b32_e64 v22, 0x7c00, v22, s1
	v_cmp_eq_u32_e64 s1, 0x40f, v5
	s_wait_alu 0xf1ff
	v_cndmask_b32_e64 v5, v22, v23, s1
	s_delay_alu instid0(VALU_DEP_1) | instskip(SKIP_3) | instid1(VALU_DEP_3)
	v_and_or_b32 v5, 0x8000, v21, v5
	v_add_co_u32 v21, s1, v10, s12
	s_wait_alu 0xf1ff
	v_add_co_ci_u32_e64 v22, s1, s13, v11, s1
	v_lshl_or_b32 v5, v5, 16, v15
	global_store_b32 v[10:11], v5, off
	ds_load_2addr_b32 v[10:11], v148 offset0:112 offset1:247
	s_wait_dscnt 0x0
	v_lshrrev_b32_e32 v25, 16, v10
	v_mul_f16_e32 v5, v35, v10
	s_delay_alu instid0(VALU_DEP_1) | instskip(NEXT) | instid1(VALU_DEP_1)
	v_fma_f16 v5, v34, v25, -v5
	v_cvt_f32_f16_e32 v5, v5
	s_delay_alu instid0(VALU_DEP_1) | instskip(NEXT) | instid1(VALU_DEP_1)
	v_cvt_f64_f32_e32 v[23:24], v5
	v_mul_f64_e32 v[23:24], s[10:11], v[23:24]
	s_delay_alu instid0(VALU_DEP_1) | instskip(SKIP_2) | instid1(VALU_DEP_3)
	v_and_or_b32 v5, 0x1ff, v24, v23
	v_lshrrev_b32_e32 v15, 8, v24
	v_bfe_u32 v26, v24, 20, 11
	v_cmp_ne_u32_e64 s1, 0, v5
	s_wait_alu 0xf1ff
	s_delay_alu instid0(VALU_DEP_1) | instskip(NEXT) | instid1(VALU_DEP_1)
	v_cndmask_b32_e64 v5, 0, 1, s1
	v_and_or_b32 v23, 0xffe, v15, v5
	v_sub_nc_u32_e32 v5, 0x3f1, v26
	s_delay_alu instid0(VALU_DEP_2) | instskip(NEXT) | instid1(VALU_DEP_2)
	v_or_b32_e32 v15, 0x1000, v23
	v_med3_i32 v5, v5, 0, 13
	s_delay_alu instid0(VALU_DEP_1) | instskip(NEXT) | instid1(VALU_DEP_1)
	v_lshrrev_b32_e32 v32, v5, v15
	v_lshlrev_b32_e32 v5, v5, v32
	s_delay_alu instid0(VALU_DEP_1) | instskip(SKIP_1) | instid1(VALU_DEP_1)
	v_cmp_ne_u32_e64 s1, v5, v15
	v_mul_f16_e32 v5, v36, v27
	v_fmac_f16_e32 v5, v33, v16
	s_delay_alu instid0(VALU_DEP_1) | instskip(NEXT) | instid1(VALU_DEP_1)
	v_cvt_f32_f16_e32 v5, v5
	v_cvt_f64_f32_e32 v[15:16], v5
	s_delay_alu instid0(VALU_DEP_1) | instskip(NEXT) | instid1(VALU_DEP_1)
	v_mul_f64_e32 v[15:16], s[10:11], v[15:16]
	v_and_or_b32 v5, 0x1ff, v16, v15
	v_lshrrev_b32_e32 v15, 8, v16
	s_delay_alu instid0(VALU_DEP_2) | instskip(SKIP_1) | instid1(VALU_DEP_1)
	v_cmp_ne_u32_e64 s2, 0, v5
	s_wait_alu 0xf1ff
	v_cndmask_b32_e64 v5, 0, 1, s2
	s_delay_alu instid0(VALU_DEP_1) | instskip(SKIP_2) | instid1(VALU_DEP_3)
	v_and_or_b32 v5, 0xffe, v15, v5
	v_bfe_u32 v15, v16, 20, 11
	v_lshrrev_b32_e32 v16, 16, v16
	v_or_b32_e32 v27, 0x1000, v5
	s_delay_alu instid0(VALU_DEP_3) | instskip(SKIP_1) | instid1(VALU_DEP_2)
	v_sub_nc_u32_e32 v18, 0x3f1, v15
	v_add_nc_u32_e32 v15, 0xfffffc10, v15
	v_med3_i32 v18, v18, 0, 13
	s_delay_alu instid0(VALU_DEP_1) | instskip(NEXT) | instid1(VALU_DEP_1)
	v_lshrrev_b32_e32 v33, v18, v27
	v_lshlrev_b32_e32 v18, v18, v33
	s_delay_alu instid0(VALU_DEP_1) | instskip(SKIP_2) | instid1(VALU_DEP_2)
	v_cmp_ne_u32_e64 s2, v18, v27
	v_lshl_or_b32 v27, v15, 12, v5
	s_wait_alu 0xf1ff
	v_cndmask_b32_e64 v18, 0, 1, s2
	v_cmp_gt_i32_e64 s2, 1, v15
	s_delay_alu instid0(VALU_DEP_2) | instskip(SKIP_1) | instid1(VALU_DEP_1)
	v_or_b32_e32 v18, v33, v18
	s_wait_alu 0xf1ff
	v_cndmask_b32_e64 v18, v27, v18, s2
	s_delay_alu instid0(VALU_DEP_1) | instskip(SKIP_1) | instid1(VALU_DEP_2)
	v_and_b32_e32 v27, 7, v18
	v_lshrrev_b32_e32 v18, 2, v18
	v_cmp_lt_i32_e64 s2, 5, v27
	v_cmp_eq_u32_e64 s3, 3, v27
	v_cndmask_b32_e64 v27, 0, 1, s0
	v_cmp_ne_u32_e64 s0, 0, v5
	v_add_nc_u32_e32 v5, 0xfffffc10, v29
	s_delay_alu instid0(VALU_DEP_4) | instskip(NEXT) | instid1(VALU_DEP_3)
	s_or_b32 s2, s3, s2
	v_or_b32_e32 v27, v30, v27
	s_wait_alu 0xfffe
	v_add_co_ci_u32_e64 v18, s2, 0, v18, s2
	v_lshl_or_b32 v29, v5, 12, v28
	v_cmp_gt_i32_e64 s4, 1, v5
	v_cmp_gt_i32_e64 s2, 31, v15
	v_cmp_ne_u32_e64 s3, 0, v28
	s_wait_alu 0xf1ff
	s_delay_alu instid0(VALU_DEP_3) | instskip(SKIP_3) | instid1(VALU_DEP_3)
	v_cndmask_b32_e64 v27, v29, v27, s4
	v_cndmask_b32_e64 v29, 0, 1, s0
	;; [unrolled: 1-line block ×3, first 2 shown]
	v_cmp_eq_u32_e64 s0, 0x40f, v15
	v_lshl_or_b32 v29, v29, 9, 0x7c00
	s_wait_alu 0xf1ff
	s_delay_alu instid0(VALU_DEP_1) | instskip(SKIP_1) | instid1(VALU_DEP_2)
	v_cndmask_b32_e64 v15, v18, v29, s0
	v_and_b32_e32 v18, 7, v27
	v_and_or_b32 v15, 0x8000, v16, v15
	s_delay_alu instid0(VALU_DEP_2) | instskip(SKIP_4) | instid1(VALU_DEP_4)
	v_cmp_lt_i32_e64 s0, 5, v18
	v_cmp_eq_u32_e64 s2, 3, v18
	v_lshrrev_b32_e32 v18, 2, v27
	v_cndmask_b32_e64 v27, 0, 1, s3
	v_and_b32_e32 v15, 0xffff, v15
	s_or_b32 s0, s2, s0
	s_wait_alu 0xfffe
	v_add_co_ci_u32_e64 v18, s0, 0, v18, s0
	v_cmp_gt_i32_e64 s0, 31, v5
	v_lshl_or_b32 v27, v27, 9, 0x7c00
	s_wait_alu 0xf1ff
	s_delay_alu instid0(VALU_DEP_2) | instskip(SKIP_2) | instid1(VALU_DEP_1)
	v_cndmask_b32_e64 v18, 0x7c00, v18, s0
	v_cmp_eq_u32_e64 s0, 0x40f, v5
	s_wait_alu 0xf1ff
	v_cndmask_b32_e64 v5, v18, v27, s0
	v_lshrrev_b32_e32 v18, 16, v20
	s_delay_alu instid0(VALU_DEP_1) | instskip(NEXT) | instid1(VALU_DEP_1)
	v_and_or_b32 v5, 0x8000, v18, v5
	v_lshl_or_b32 v5, v5, 16, v15
	v_add_co_u32 v15, s0, v21, s12
	s_wait_alu 0xf1ff
	v_add_co_ci_u32_e64 v16, s0, s13, v22, s0
	global_store_b32 v[21:22], v5, off
	v_cvt_f64_f32_e32 v[20:21], v3
	s_delay_alu instid0(VALU_DEP_1) | instskip(NEXT) | instid1(VALU_DEP_1)
	v_mul_f64_e32 v[20:21], s[10:11], v[20:21]
	v_and_or_b32 v3, 0x1ff, v21, v20
	v_lshrrev_b32_e32 v5, 8, v21
	s_delay_alu instid0(VALU_DEP_2) | instskip(SKIP_1) | instid1(VALU_DEP_1)
	v_cmp_ne_u32_e64 s0, 0, v3
	s_wait_alu 0xf1ff
	v_cndmask_b32_e64 v3, 0, 1, s0
	s_delay_alu instid0(VALU_DEP_1) | instskip(SKIP_1) | instid1(VALU_DEP_2)
	v_and_or_b32 v3, 0xffe, v5, v3
	v_bfe_u32 v5, v21, 20, 11
	v_or_b32_e32 v20, 0x1000, v3
	s_delay_alu instid0(VALU_DEP_2) | instskip(SKIP_1) | instid1(VALU_DEP_2)
	v_sub_nc_u32_e32 v18, 0x3f1, v5
	v_add_nc_u32_e32 v5, 0xfffffc10, v5
	v_med3_i32 v18, v18, 0, 13
	s_delay_alu instid0(VALU_DEP_1) | instskip(NEXT) | instid1(VALU_DEP_1)
	v_lshrrev_b32_e32 v22, v18, v20
	v_lshlrev_b32_e32 v18, v18, v22
	s_delay_alu instid0(VALU_DEP_1) | instskip(SKIP_2) | instid1(VALU_DEP_2)
	v_cmp_ne_u32_e64 s0, v18, v20
	v_lshl_or_b32 v20, v5, 12, v3
	s_wait_alu 0xf1ff
	v_cndmask_b32_e64 v18, 0, 1, s0
	v_cmp_gt_i32_e64 s0, 1, v5
	s_delay_alu instid0(VALU_DEP_2) | instskip(SKIP_1) | instid1(VALU_DEP_1)
	v_or_b32_e32 v18, v22, v18
	s_wait_alu 0xf1ff
	v_cndmask_b32_e64 v18, v20, v18, s0
	s_delay_alu instid0(VALU_DEP_1) | instskip(NEXT) | instid1(VALU_DEP_1)
	v_and_b32_e32 v20, 7, v18
	v_cmp_lt_i32_e64 s0, 5, v20
	v_cmp_eq_u32_e64 s2, 3, v20
	s_wait_alu 0xfffd
	v_cndmask_b32_e64 v20, 0, 1, vcc_lo
	v_cmp_ne_u32_e32 vcc_lo, 0, v3
	v_add_nc_u32_e32 v3, 0xfffffc10, v9
	s_or_b32 s0, s2, s0
	s_delay_alu instid0(VALU_DEP_3) | instskip(SKIP_1) | instid1(VALU_DEP_3)
	v_or_b32_e32 v13, v13, v20
	v_cmp_ne_u32_e64 s2, 0, v7
	v_lshl_or_b32 v9, v3, 12, v7
	v_cmp_gt_i32_e64 s3, 1, v3
	v_lshrrev_b32_e32 v7, 16, v21
	scratch_load_b32 v20, off, off offset:96 th:TH_LOAD_LU ; 4-byte Folded Reload
	s_wait_alu 0xf1ff
	v_cndmask_b32_e64 v9, v9, v13, s3
	v_lshrrev_b32_e32 v13, 2, v18
	s_wait_alu 0xfffd
	v_cndmask_b32_e64 v18, 0, 1, vcc_lo
	v_cmp_eq_u32_e32 vcc_lo, 0x40f, v5
	s_wait_alu 0xfffe
	v_add_co_ci_u32_e64 v13, s0, 0, v13, s0
	v_cmp_gt_i32_e64 s0, 31, v5
	v_lshl_or_b32 v18, v18, 9, 0x7c00
	s_wait_alu 0xf1ff
	s_delay_alu instid0(VALU_DEP_2) | instskip(SKIP_1) | instid1(VALU_DEP_1)
	v_cndmask_b32_e64 v13, 0x7c00, v13, s0
	s_wait_alu 0xfffd
	v_cndmask_b32_e32 v5, v13, v18, vcc_lo
	v_and_b32_e32 v13, 7, v9
	v_lshrrev_b32_e32 v9, 2, v9
	s_delay_alu instid0(VALU_DEP_3) | instskip(NEXT) | instid1(VALU_DEP_3)
	v_and_or_b32 v5, 0x8000, v7, v5
	v_cmp_lt_i32_e32 vcc_lo, 5, v13
	v_cmp_eq_u32_e64 s0, 3, v13
	v_cndmask_b32_e64 v13, 0, 1, s2
	s_delay_alu instid0(VALU_DEP_4) | instskip(NEXT) | instid1(VALU_DEP_3)
	v_and_b32_e32 v5, 0xffff, v5
	s_or_b32 vcc_lo, s0, vcc_lo
	s_delay_alu instid0(VALU_DEP_2) | instskip(SKIP_4) | instid1(VALU_DEP_2)
	v_lshl_or_b32 v13, v13, 9, 0x7c00
	s_wait_alu 0xfffe
	v_add_co_ci_u32_e32 v9, vcc_lo, 0, v9, vcc_lo
	v_cmp_gt_i32_e32 vcc_lo, 31, v3
	s_wait_alu 0xfffd
	v_cndmask_b32_e32 v9, 0x7c00, v9, vcc_lo
	v_cmp_eq_u32_e32 vcc_lo, 0x40f, v3
	s_wait_alu 0xfffd
	s_delay_alu instid0(VALU_DEP_2) | instskip(SKIP_4) | instid1(VALU_DEP_3)
	v_cndmask_b32_e32 v3, v9, v13, vcc_lo
	v_lshrrev_b32_e32 v9, 16, v19
	v_add_co_u32 v18, vcc_lo, v15, s12
	s_wait_alu 0xfffd
	v_add_co_ci_u32_e32 v19, vcc_lo, s13, v16, vcc_lo
	v_and_or_b32 v3, 0x8000, v9, v3
	s_delay_alu instid0(VALU_DEP_1) | instskip(SKIP_2) | instid1(VALU_DEP_1)
	v_lshl_or_b32 v3, v3, 16, v5
	global_store_b32 v[15:16], v3, off
	v_cvt_f32_f16_e32 v3, v31
	v_cvt_f64_f32_e32 v[15:16], v3
	s_delay_alu instid0(VALU_DEP_1) | instskip(NEXT) | instid1(VALU_DEP_1)
	v_mul_f64_e32 v[15:16], s[10:11], v[15:16]
	v_and_or_b32 v3, 0x1ff, v16, v15
	scratch_load_b32 v15, off, off offset:100 th:TH_LOAD_LU ; 4-byte Folded Reload
	v_lshrrev_b32_e32 v5, 8, v16
	v_bfe_u32 v7, v16, 20, 11
	v_cmp_ne_u32_e32 vcc_lo, 0, v3
	s_wait_alu 0xfffd
	v_cndmask_b32_e64 v3, 0, 1, vcc_lo
	s_delay_alu instid0(VALU_DEP_1) | instskip(SKIP_1) | instid1(VALU_DEP_2)
	v_and_or_b32 v5, 0xffe, v5, v3
	v_sub_nc_u32_e32 v3, 0x3f1, v7
	v_or_b32_e32 v9, 0x1000, v5
	s_delay_alu instid0(VALU_DEP_2) | instskip(NEXT) | instid1(VALU_DEP_1)
	v_med3_i32 v3, v3, 0, 13
	v_lshrrev_b32_e32 v13, v3, v9
	s_delay_alu instid0(VALU_DEP_1) | instskip(NEXT) | instid1(VALU_DEP_1)
	v_lshlrev_b32_e32 v3, v3, v13
	v_cmp_ne_u32_e32 vcc_lo, v3, v9
	v_lshrrev_b32_e32 v9, 16, v14
	s_wait_loadcnt 0x0
	s_delay_alu instid0(VALU_DEP_1) | instskip(SKIP_1) | instid1(VALU_DEP_2)
	v_mul_f16_e32 v3, v15, v9
	v_mul_f16_e32 v15, v15, v14
	v_fmac_f16_e32 v3, v20, v14
	s_delay_alu instid0(VALU_DEP_2) | instskip(SKIP_1) | instid1(VALU_DEP_3)
	v_fma_f16 v20, v20, v9, -v15
	v_mul_f16_e32 v9, v35, v25
	v_cvt_f32_f16_e32 v3, v3
	s_delay_alu instid0(VALU_DEP_3) | instskip(NEXT) | instid1(VALU_DEP_3)
	v_cvt_f32_f16_e32 v20, v20
	v_fmac_f16_e32 v9, v34, v10
	s_delay_alu instid0(VALU_DEP_1) | instskip(NEXT) | instid1(VALU_DEP_1)
	v_cvt_f32_f16_e32 v9, v9
	v_cvt_f64_f32_e32 v[9:10], v9
	s_delay_alu instid0(VALU_DEP_1) | instskip(NEXT) | instid1(VALU_DEP_1)
	v_mul_f64_e32 v[9:10], s[10:11], v[9:10]
	v_and_or_b32 v9, 0x1ff, v10, v9
	v_lshrrev_b32_e32 v14, 8, v10
	s_delay_alu instid0(VALU_DEP_2) | instskip(SKIP_1) | instid1(VALU_DEP_1)
	v_cmp_ne_u32_e64 s0, 0, v9
	s_wait_alu 0xf1ff
	v_cndmask_b32_e64 v9, 0, 1, s0
	s_delay_alu instid0(VALU_DEP_1) | instskip(SKIP_2) | instid1(VALU_DEP_3)
	v_and_or_b32 v9, 0xffe, v14, v9
	v_bfe_u32 v14, v10, 20, 11
	v_lshrrev_b32_e32 v10, 16, v10
	v_or_b32_e32 v21, 0x1000, v9
	s_delay_alu instid0(VALU_DEP_3) | instskip(SKIP_1) | instid1(VALU_DEP_2)
	v_sub_nc_u32_e32 v15, 0x3f1, v14
	v_add_nc_u32_e32 v14, 0xfffffc10, v14
	v_med3_i32 v15, v15, 0, 13
	s_delay_alu instid0(VALU_DEP_1) | instskip(NEXT) | instid1(VALU_DEP_1)
	v_lshrrev_b32_e32 v22, v15, v21
	v_lshlrev_b32_e32 v15, v15, v22
	s_delay_alu instid0(VALU_DEP_1) | instskip(SKIP_2) | instid1(VALU_DEP_2)
	v_cmp_ne_u32_e64 s0, v15, v21
	v_lshl_or_b32 v21, v14, 12, v9
	s_wait_alu 0xf1ff
	v_cndmask_b32_e64 v15, 0, 1, s0
	v_cmp_gt_i32_e64 s0, 1, v14
	s_delay_alu instid0(VALU_DEP_2) | instskip(SKIP_1) | instid1(VALU_DEP_1)
	v_or_b32_e32 v15, v22, v15
	s_wait_alu 0xf1ff
	v_cndmask_b32_e64 v15, v21, v15, s0
	s_delay_alu instid0(VALU_DEP_1) | instskip(SKIP_1) | instid1(VALU_DEP_2)
	v_and_b32_e32 v21, 7, v15
	v_lshrrev_b32_e32 v15, 2, v15
	v_cmp_lt_i32_e64 s0, 5, v21
	v_cmp_eq_u32_e64 s2, 3, v21
	v_cndmask_b32_e64 v21, 0, 1, s1
	v_cmp_ne_u32_e64 s1, 0, v9
	v_add_nc_u32_e32 v9, 0xfffffc10, v26
	s_delay_alu instid0(VALU_DEP_4) | instskip(NEXT) | instid1(VALU_DEP_3)
	s_or_b32 s0, s2, s0
	v_or_b32_e32 v21, v32, v21
	s_wait_alu 0xfffe
	v_add_co_ci_u32_e64 v15, s0, 0, v15, s0
	v_lshl_or_b32 v22, v9, 12, v23
	v_cmp_gt_i32_e64 s3, 1, v9
	v_cmp_gt_i32_e64 s0, 31, v14
	v_cmp_ne_u32_e64 s2, 0, v23
	scratch_load_b32 v23, off, off offset:80 th:TH_LOAD_LU ; 4-byte Folded Reload
	s_wait_alu 0xf1ff
	v_cndmask_b32_e64 v21, v22, v21, s3
	v_cndmask_b32_e64 v22, 0, 1, s1
	;; [unrolled: 1-line block ×3, first 2 shown]
	v_cmp_eq_u32_e64 s0, 0x40f, v14
	s_delay_alu instid0(VALU_DEP_3) | instskip(SKIP_1) | instid1(VALU_DEP_1)
	v_lshl_or_b32 v22, v22, 9, 0x7c00
	s_wait_alu 0xf1ff
	v_cndmask_b32_e64 v14, v15, v22, s0
	v_and_b32_e32 v15, 7, v21
	s_delay_alu instid0(VALU_DEP_2) | instskip(NEXT) | instid1(VALU_DEP_2)
	v_and_or_b32 v10, 0x8000, v10, v14
	v_cmp_lt_i32_e64 s0, 5, v15
	v_cmp_eq_u32_e64 s1, 3, v15
	v_lshrrev_b32_e32 v15, 2, v21
	v_cndmask_b32_e64 v21, 0, 1, s2
	v_and_b32_e32 v10, 0xffff, v10
	s_delay_alu instid0(VALU_DEP_4)
	s_or_b32 s0, s1, s0
	s_wait_alu 0xfffe
	v_add_co_ci_u32_e64 v15, s0, 0, v15, s0
	v_cmp_gt_i32_e64 s0, 31, v9
	v_lshl_or_b32 v21, v21, 9, 0x7c00
	s_wait_alu 0xf1ff
	s_delay_alu instid0(VALU_DEP_2) | instskip(SKIP_2) | instid1(VALU_DEP_1)
	v_cndmask_b32_e64 v15, 0x7c00, v15, s0
	v_cmp_eq_u32_e64 s0, 0x40f, v9
	s_wait_alu 0xf1ff
	v_cndmask_b32_e64 v9, v15, v21, s0
	v_lshrrev_b32_e32 v15, 16, v24
	v_add_co_u32 v14, s0, v18, s12
	s_delay_alu instid0(VALU_DEP_2) | instskip(SKIP_2) | instid1(VALU_DEP_2)
	v_and_or_b32 v9, 0x8000, v15, v9
	s_wait_alu 0xf1ff
	v_add_co_ci_u32_e64 v15, s0, s13, v19, s0
	v_lshl_or_b32 v9, v9, 16, v10
	global_store_b32 v[18:19], v9, off
	ds_load_2addr_b32 v[9:10], v179 offset0:26 offset1:161
	s_wait_dscnt 0x0
	v_lshrrev_b32_e32 v29, 16, v9
	v_mul_f16_e32 v18, v38, v9
	s_delay_alu instid0(VALU_DEP_1) | instskip(NEXT) | instid1(VALU_DEP_1)
	v_fma_f16 v18, v37, v29, -v18
	v_cvt_f32_f16_e32 v18, v18
	s_delay_alu instid0(VALU_DEP_1) | instskip(NEXT) | instid1(VALU_DEP_1)
	v_cvt_f64_f32_e32 v[18:19], v18
	v_mul_f64_e32 v[18:19], s[10:11], v[18:19]
	s_delay_alu instid0(VALU_DEP_1) | instskip(SKIP_2) | instid1(VALU_DEP_3)
	v_and_or_b32 v18, 0x1ff, v19, v18
	v_lshrrev_b32_e32 v21, 8, v19
	v_bfe_u32 v26, v19, 20, 11
	v_cmp_ne_u32_e64 s0, 0, v18
	s_wait_alu 0xf1ff
	s_delay_alu instid0(VALU_DEP_1) | instskip(NEXT) | instid1(VALU_DEP_1)
	v_cndmask_b32_e64 v18, 0, 1, s0
	v_and_or_b32 v18, 0xffe, v21, v18
	v_sub_nc_u32_e32 v21, 0x3f1, v26
	s_delay_alu instid0(VALU_DEP_2) | instskip(NEXT) | instid1(VALU_DEP_2)
	v_or_b32_e32 v22, 0x1000, v18
	v_med3_i32 v21, v21, 0, 13
	s_delay_alu instid0(VALU_DEP_1) | instskip(NEXT) | instid1(VALU_DEP_1)
	v_lshrrev_b32_e32 v28, v21, v22
	v_lshlrev_b32_e32 v21, v21, v28
	s_delay_alu instid0(VALU_DEP_1) | instskip(SKIP_1) | instid1(VALU_DEP_1)
	v_cmp_ne_u32_e64 s0, v21, v22
	v_cvt_f64_f32_e32 v[20:21], v20
	v_mul_f64_e32 v[20:21], s[10:11], v[20:21]
	s_delay_alu instid0(VALU_DEP_1) | instskip(SKIP_2) | instid1(VALU_DEP_3)
	v_and_or_b32 v20, 0x1ff, v21, v20
	v_lshrrev_b32_e32 v22, 8, v21
	v_bfe_u32 v30, v21, 20, 11
	v_cmp_ne_u32_e64 s1, 0, v20
	s_wait_alu 0xf1ff
	s_delay_alu instid0(VALU_DEP_1) | instskip(NEXT) | instid1(VALU_DEP_1)
	v_cndmask_b32_e64 v20, 0, 1, s1
	v_and_or_b32 v27, 0xffe, v22, v20
	v_sub_nc_u32_e32 v20, 0x3f1, v30
	s_delay_alu instid0(VALU_DEP_2) | instskip(NEXT) | instid1(VALU_DEP_2)
	v_or_b32_e32 v22, 0x1000, v27
	v_med3_i32 v20, v20, 0, 13
	s_delay_alu instid0(VALU_DEP_1) | instskip(NEXT) | instid1(VALU_DEP_1)
	v_lshrrev_b32_e32 v31, v20, v22
	v_lshlrev_b32_e32 v20, v20, v31
	s_delay_alu instid0(VALU_DEP_1) | instskip(SKIP_3) | instid1(VALU_DEP_1)
	v_cmp_ne_u32_e64 s2, v20, v22
	scratch_load_b32 v22, off, off offset:84 th:TH_LOAD_LU ; 4-byte Folded Reload
	v_lshrrev_b32_e32 v20, 16, v8
	s_wait_loadcnt 0x0
	v_mul_f16_e32 v24, v22, v20
	v_mul_f16_e32 v22, v22, v8
	s_delay_alu instid0(VALU_DEP_2) | instskip(NEXT) | instid1(VALU_DEP_2)
	v_fmac_f16_e32 v24, v23, v8
	v_fma_f16 v34, v23, v20, -v22
	v_cvt_f64_f32_e32 v[22:23], v1
	s_delay_alu instid0(VALU_DEP_1) | instskip(NEXT) | instid1(VALU_DEP_1)
	v_mul_f64_e32 v[22:23], s[10:11], v[22:23]
	v_and_or_b32 v1, 0x1ff, v23, v22
	v_lshrrev_b32_e32 v8, 8, v23
	s_delay_alu instid0(VALU_DEP_2) | instskip(SKIP_1) | instid1(VALU_DEP_1)
	v_cmp_ne_u32_e64 s1, 0, v1
	s_wait_alu 0xf1ff
	v_cndmask_b32_e64 v1, 0, 1, s1
	s_delay_alu instid0(VALU_DEP_1) | instskip(SKIP_1) | instid1(VALU_DEP_2)
	v_and_or_b32 v1, 0xffe, v8, v1
	v_bfe_u32 v8, v23, 20, 11
	v_or_b32_e32 v22, 0x1000, v1
	s_delay_alu instid0(VALU_DEP_2) | instskip(SKIP_1) | instid1(VALU_DEP_2)
	v_sub_nc_u32_e32 v20, 0x3f1, v8
	v_add_nc_u32_e32 v8, 0xfffffc10, v8
	v_med3_i32 v20, v20, 0, 13
	s_delay_alu instid0(VALU_DEP_1) | instskip(NEXT) | instid1(VALU_DEP_1)
	v_lshrrev_b32_e32 v25, v20, v22
	v_lshlrev_b32_e32 v20, v20, v25
	s_delay_alu instid0(VALU_DEP_1) | instskip(SKIP_2) | instid1(VALU_DEP_2)
	v_cmp_ne_u32_e64 s1, v20, v22
	v_lshl_or_b32 v22, v8, 12, v1
	s_wait_alu 0xf1ff
	v_cndmask_b32_e64 v20, 0, 1, s1
	v_cmp_gt_i32_e64 s1, 1, v8
	s_delay_alu instid0(VALU_DEP_2) | instskip(SKIP_1) | instid1(VALU_DEP_1)
	v_or_b32_e32 v20, v25, v20
	s_wait_alu 0xf1ff
	v_cndmask_b32_e64 v20, v22, v20, s1
	s_delay_alu instid0(VALU_DEP_1) | instskip(NEXT) | instid1(VALU_DEP_1)
	v_and_b32_e32 v22, 7, v20
	v_cmp_lt_i32_e64 s1, 5, v22
	v_cmp_eq_u32_e64 s3, 3, v22
	s_wait_alu 0xfffd
	v_cndmask_b32_e64 v22, 0, 1, vcc_lo
	v_cmp_ne_u32_e32 vcc_lo, 0, v1
	v_add_nc_u32_e32 v1, 0xfffffc10, v7
	s_or_b32 s1, s3, s1
	s_delay_alu instid0(VALU_DEP_3) | instskip(SKIP_1) | instid1(VALU_DEP_3)
	v_or_b32_e32 v13, v13, v22
	v_cmp_ne_u32_e64 s3, 0, v5
	v_lshl_or_b32 v7, v1, 12, v5
	v_cmp_gt_i32_e64 s4, 1, v1
	s_wait_alu 0xf1ff
	s_delay_alu instid0(VALU_DEP_1)
	v_cndmask_b32_e64 v7, v7, v13, s4
	v_lshrrev_b32_e32 v13, 2, v20
	s_wait_alu 0xfffd
	v_cndmask_b32_e64 v20, 0, 1, vcc_lo
	v_cmp_eq_u32_e32 vcc_lo, 0x40f, v8
	v_lshrrev_b32_e32 v5, 2, v7
	s_wait_alu 0xfffe
	v_add_co_ci_u32_e64 v13, s1, 0, v13, s1
	v_cmp_gt_i32_e64 s1, 31, v8
	v_lshl_or_b32 v20, v20, 9, 0x7c00
	s_wait_alu 0xf1ff
	s_delay_alu instid0(VALU_DEP_2) | instskip(SKIP_1) | instid1(VALU_DEP_1)
	v_cndmask_b32_e64 v13, 0x7c00, v13, s1
	s_wait_alu 0xfffd
	v_cndmask_b32_e32 v8, v13, v20, vcc_lo
	v_and_b32_e32 v20, 7, v7
	v_cndmask_b32_e64 v7, 0, 1, s3
	v_lshrrev_b32_e32 v13, 16, v23
	s_delay_alu instid0(VALU_DEP_3) | instskip(SKIP_1) | instid1(VALU_DEP_4)
	v_cmp_lt_i32_e32 vcc_lo, 5, v20
	v_cmp_eq_u32_e64 s1, 3, v20
	v_lshl_or_b32 v7, v7, 9, 0x7c00
	s_delay_alu instid0(VALU_DEP_2) | instskip(SKIP_4) | instid1(VALU_DEP_2)
	s_or_b32 vcc_lo, s1, vcc_lo
	s_wait_alu 0xfffe
	v_add_co_ci_u32_e32 v5, vcc_lo, 0, v5, vcc_lo
	v_cmp_gt_i32_e32 vcc_lo, 31, v1
	s_wait_alu 0xfffd
	v_cndmask_b32_e32 v5, 0x7c00, v5, vcc_lo
	v_cmp_eq_u32_e32 vcc_lo, 0x40f, v1
	s_wait_alu 0xfffd
	s_delay_alu instid0(VALU_DEP_2)
	v_cndmask_b32_e32 v1, v5, v7, vcc_lo
	v_lshrrev_b32_e32 v5, 16, v16
	v_and_or_b32 v7, 0x8000, v13, v8
	v_add_co_u32 v32, vcc_lo, v14, s12
	s_wait_alu 0xfffd
	v_add_co_ci_u32_e32 v33, vcc_lo, s13, v15, vcc_lo
	v_and_or_b32 v1, 0x8000, v5, v1
	v_and_b32_e32 v5, 0xffff, v7
	ds_load_2addr_b32 v[7:8], v165 offset0:68 offset1:203
	v_lshl_or_b32 v1, v1, 16, v5
	global_store_b32 v[14:15], v1, off
	scratch_load_b32 v15, off, off offset:64 th:TH_LOAD_LU ; 4-byte Folded Reload
	s_wait_dscnt 0x0
	v_lshrrev_b32_e32 v23, 16, v7
	v_mul_f16_e32 v1, v40, v7
	s_delay_alu instid0(VALU_DEP_1) | instskip(SKIP_1) | instid1(VALU_DEP_2)
	v_fma_f16 v1, v39, v23, -v1
	v_mul_f16_e32 v23, v40, v23
	v_cvt_f32_f16_e32 v1, v1
	s_delay_alu instid0(VALU_DEP_2) | instskip(NEXT) | instid1(VALU_DEP_2)
	v_fmac_f16_e32 v23, v39, v7
	v_cvt_f64_f32_e32 v[13:14], v1
	s_delay_alu instid0(VALU_DEP_2) | instskip(NEXT) | instid1(VALU_DEP_2)
	v_cvt_f32_f16_e32 v7, v23
	v_mul_f64_e32 v[13:14], s[10:11], v[13:14]
	s_delay_alu instid0(VALU_DEP_1) | instskip(SKIP_3) | instid1(VALU_DEP_4)
	v_and_or_b32 v1, 0x1ff, v14, v13
	v_lshrrev_b32_e32 v5, 8, v14
	v_bfe_u32 v20, v14, 20, 11
	v_lshrrev_b32_e32 v14, 16, v14
	v_cmp_ne_u32_e32 vcc_lo, 0, v1
	s_wait_alu 0xfffd
	v_cndmask_b32_e64 v1, 0, 1, vcc_lo
	s_delay_alu instid0(VALU_DEP_1) | instskip(SKIP_1) | instid1(VALU_DEP_2)
	v_and_or_b32 v1, 0xffe, v5, v1
	v_sub_nc_u32_e32 v5, 0x3f1, v20
	v_or_b32_e32 v13, 0x1000, v1
	s_delay_alu instid0(VALU_DEP_2) | instskip(NEXT) | instid1(VALU_DEP_1)
	v_med3_i32 v5, v5, 0, 13
	v_lshrrev_b32_e32 v22, v5, v13
	s_delay_alu instid0(VALU_DEP_1) | instskip(NEXT) | instid1(VALU_DEP_1)
	v_lshlrev_b32_e32 v5, v5, v22
	v_cmp_ne_u32_e32 vcc_lo, v5, v13
	scratch_load_b32 v13, off, off offset:68 th:TH_LOAD_LU ; 4-byte Folded Reload
	v_lshrrev_b32_e32 v5, 16, v12
	s_wait_loadcnt 0x0
	s_delay_alu instid0(VALU_DEP_1) | instskip(SKIP_1) | instid1(VALU_DEP_2)
	v_mul_f16_e32 v35, v13, v5
	v_mul_f16_e32 v13, v13, v12
	v_fmac_f16_e32 v35, v15, v12
	s_delay_alu instid0(VALU_DEP_2) | instskip(SKIP_1) | instid1(VALU_DEP_1)
	v_fma_f16 v36, v15, v5, -v13
	v_cvt_f32_f16_e32 v5, v24
	v_cvt_f64_f32_e32 v[12:13], v5
	s_delay_alu instid0(VALU_DEP_1) | instskip(NEXT) | instid1(VALU_DEP_1)
	v_mul_f64_e32 v[15:16], s[10:11], v[12:13]
	v_and_or_b32 v5, 0x1ff, v16, v15
	v_lshrrev_b32_e32 v12, 8, v16
	v_bfe_u32 v24, v16, 20, 11
	v_lshrrev_b32_e32 v16, 16, v16
	s_delay_alu instid0(VALU_DEP_4) | instskip(SKIP_1) | instid1(VALU_DEP_1)
	v_cmp_ne_u32_e64 s1, 0, v5
	s_wait_alu 0xf1ff
	v_cndmask_b32_e64 v5, 0, 1, s1
	s_delay_alu instid0(VALU_DEP_1) | instskip(SKIP_1) | instid1(VALU_DEP_2)
	v_and_or_b32 v15, 0xffe, v12, v5
	v_sub_nc_u32_e32 v5, 0x3f1, v24
	v_or_b32_e32 v12, 0x1000, v15
	s_delay_alu instid0(VALU_DEP_2) | instskip(NEXT) | instid1(VALU_DEP_1)
	v_med3_i32 v5, v5, 0, 13
	v_lshrrev_b32_e32 v25, v5, v12
	s_delay_alu instid0(VALU_DEP_1) | instskip(NEXT) | instid1(VALU_DEP_1)
	v_lshlrev_b32_e32 v5, v5, v25
	v_cmp_ne_u32_e64 s1, v5, v12
	v_mul_f16_e32 v5, v38, v29
	s_delay_alu instid0(VALU_DEP_1) | instskip(NEXT) | instid1(VALU_DEP_1)
	v_fmac_f16_e32 v5, v37, v9
	v_cvt_f32_f16_e32 v5, v5
	s_delay_alu instid0(VALU_DEP_1) | instskip(NEXT) | instid1(VALU_DEP_1)
	v_cvt_f64_f32_e32 v[12:13], v5
	v_mul_f64_e32 v[12:13], s[10:11], v[12:13]
	s_delay_alu instid0(VALU_DEP_1) | instskip(SKIP_1) | instid1(VALU_DEP_2)
	v_and_or_b32 v5, 0x1ff, v13, v12
	v_lshrrev_b32_e32 v9, 8, v13
	v_cmp_ne_u32_e64 s3, 0, v5
	s_wait_alu 0xf1ff
	s_delay_alu instid0(VALU_DEP_1) | instskip(NEXT) | instid1(VALU_DEP_1)
	v_cndmask_b32_e64 v5, 0, 1, s3
	v_and_or_b32 v5, 0xffe, v9, v5
	v_bfe_u32 v9, v13, 20, 11
	s_delay_alu instid0(VALU_DEP_2) | instskip(NEXT) | instid1(VALU_DEP_2)
	v_or_b32_e32 v29, 0x1000, v5
	v_sub_nc_u32_e32 v12, 0x3f1, v9
	v_add_nc_u32_e32 v9, 0xfffffc10, v9
	s_delay_alu instid0(VALU_DEP_2) | instskip(NEXT) | instid1(VALU_DEP_1)
	v_med3_i32 v12, v12, 0, 13
	v_lshrrev_b32_e32 v37, v12, v29
	s_delay_alu instid0(VALU_DEP_1) | instskip(NEXT) | instid1(VALU_DEP_1)
	v_lshlrev_b32_e32 v12, v12, v37
	v_cmp_ne_u32_e64 s3, v12, v29
	v_lshl_or_b32 v29, v9, 12, v5
	s_wait_alu 0xf1ff
	s_delay_alu instid0(VALU_DEP_2) | instskip(SKIP_1) | instid1(VALU_DEP_2)
	v_cndmask_b32_e64 v12, 0, 1, s3
	v_cmp_gt_i32_e64 s3, 1, v9
	v_or_b32_e32 v12, v37, v12
	s_wait_alu 0xf1ff
	s_delay_alu instid0(VALU_DEP_1) | instskip(NEXT) | instid1(VALU_DEP_1)
	v_cndmask_b32_e64 v12, v29, v12, s3
	v_and_b32_e32 v29, 7, v12
	v_lshrrev_b32_e32 v12, 2, v12
	s_delay_alu instid0(VALU_DEP_2) | instskip(SKIP_4) | instid1(VALU_DEP_4)
	v_cmp_lt_i32_e64 s3, 5, v29
	v_cmp_eq_u32_e64 s4, 3, v29
	v_cndmask_b32_e64 v29, 0, 1, s0
	v_cmp_ne_u32_e64 s0, 0, v5
	v_add_nc_u32_e32 v5, 0xfffffc10, v26
	s_or_b32 s3, s4, s3
	s_delay_alu instid0(VALU_DEP_3)
	v_or_b32_e32 v28, v28, v29
	s_wait_alu 0xfffe
	v_add_co_ci_u32_e64 v12, s3, 0, v12, s3
	v_lshl_or_b32 v26, v5, 12, v18
	v_cmp_gt_i32_e64 s5, 1, v5
	v_cmp_gt_i32_e64 s3, 31, v9
	v_cmp_ne_u32_e64 s4, 0, v18
	s_wait_alu 0xf1ff
	s_delay_alu instid0(VALU_DEP_3) | instskip(SKIP_4) | instid1(VALU_DEP_4)
	v_cndmask_b32_e64 v26, v26, v28, s5
	v_cndmask_b32_e64 v28, 0, 1, s0
	;; [unrolled: 1-line block ×3, first 2 shown]
	v_cmp_eq_u32_e64 s0, 0x40f, v9
	v_cndmask_b32_e64 v18, 0, 1, s4
	v_lshl_or_b32 v28, v28, 9, 0x7c00
	s_delay_alu instid0(VALU_DEP_2) | instskip(SKIP_1) | instid1(VALU_DEP_2)
	v_lshl_or_b32 v18, v18, 9, 0x7c00
	s_wait_alu 0xf1ff
	v_cndmask_b32_e64 v9, v12, v28, s0
	v_lshrrev_b32_e32 v12, 16, v13
	v_and_b32_e32 v13, 7, v26
	s_delay_alu instid0(VALU_DEP_2) | instskip(NEXT) | instid1(VALU_DEP_2)
	v_and_or_b32 v9, 0x8000, v12, v9
	v_cmp_lt_i32_e64 s0, 5, v13
	v_cmp_eq_u32_e64 s3, 3, v13
	v_lshrrev_b32_e32 v13, 2, v26
	s_delay_alu instid0(VALU_DEP_4) | instskip(NEXT) | instid1(VALU_DEP_3)
	v_and_b32_e32 v9, 0xffff, v9
	s_or_b32 s0, s3, s0
	s_wait_alu 0xfffe
	s_delay_alu instid0(VALU_DEP_2) | instskip(SKIP_2) | instid1(VALU_DEP_1)
	v_add_co_ci_u32_e64 v13, s0, 0, v13, s0
	v_cmp_gt_i32_e64 s0, 31, v5
	s_wait_alu 0xf1ff
	v_cndmask_b32_e64 v13, 0x7c00, v13, s0
	v_cmp_eq_u32_e64 s0, 0x40f, v5
	s_wait_alu 0xf1ff
	s_delay_alu instid0(VALU_DEP_1) | instskip(SKIP_3) | instid1(VALU_DEP_3)
	v_cndmask_b32_e64 v5, v13, v18, s0
	v_lshrrev_b32_e32 v13, 16, v19
	v_cvt_f64_f32_e32 v[18:19], v3
	v_add_co_u32 v12, s0, v32, s12
	v_and_or_b32 v5, 0x8000, v13, v5
	s_wait_alu 0xf1ff
	v_add_co_ci_u32_e64 v13, s0, s13, v33, s0
	s_delay_alu instid0(VALU_DEP_2) | instskip(SKIP_2) | instid1(VALU_DEP_1)
	v_lshl_or_b32 v5, v5, 16, v9
	global_store_b32 v[32:33], v5, off
	v_mul_f64_e32 v[18:19], s[10:11], v[18:19]
	v_and_or_b32 v3, 0x1ff, v19, v18
	v_lshrrev_b32_e32 v5, 8, v19
	s_delay_alu instid0(VALU_DEP_2) | instskip(SKIP_1) | instid1(VALU_DEP_1)
	v_cmp_ne_u32_e64 s0, 0, v3
	s_wait_alu 0xf1ff
	v_cndmask_b32_e64 v3, 0, 1, s0
	s_delay_alu instid0(VALU_DEP_1) | instskip(SKIP_1) | instid1(VALU_DEP_2)
	v_and_or_b32 v3, 0xffe, v5, v3
	v_bfe_u32 v5, v19, 20, 11
	v_or_b32_e32 v18, 0x1000, v3
	s_delay_alu instid0(VALU_DEP_2) | instskip(SKIP_2) | instid1(VALU_DEP_3)
	v_sub_nc_u32_e32 v9, 0x3f1, v5
	v_add_nc_u32_e32 v5, 0xfffffc10, v5
	v_cmp_ne_u32_e64 s3, 0, v3
	v_med3_i32 v9, v9, 0, 13
	s_delay_alu instid0(VALU_DEP_1) | instskip(NEXT) | instid1(VALU_DEP_1)
	v_lshrrev_b32_e32 v26, v9, v18
	v_lshlrev_b32_e32 v9, v9, v26
	s_delay_alu instid0(VALU_DEP_1) | instskip(SKIP_2) | instid1(VALU_DEP_2)
	v_cmp_ne_u32_e64 s0, v9, v18
	v_lshl_or_b32 v18, v5, 12, v3
	s_wait_alu 0xf1ff
	v_cndmask_b32_e64 v9, 0, 1, s0
	v_cmp_gt_i32_e64 s0, 1, v5
	s_delay_alu instid0(VALU_DEP_2) | instskip(SKIP_2) | instid1(VALU_DEP_2)
	v_or_b32_e32 v9, v26, v9
	v_add_nc_u32_e32 v26, 0xfffffc10, v30
	s_wait_alu 0xf1ff
	v_cndmask_b32_e64 v9, v18, v9, s0
	v_cndmask_b32_e64 v18, 0, 1, s2
	s_delay_alu instid0(VALU_DEP_3) | instskip(SKIP_1) | instid1(VALU_DEP_3)
	v_lshl_or_b32 v28, v26, 12, v27
	v_cmp_gt_i32_e64 s0, 1, v26
	v_or_b32_e32 v18, v31, v18
	s_wait_alu 0xf1ff
	s_delay_alu instid0(VALU_DEP_1) | instskip(SKIP_1) | instid1(VALU_DEP_2)
	v_cndmask_b32_e64 v18, v28, v18, s0
	v_and_b32_e32 v28, 7, v9
	v_and_b32_e32 v3, 7, v18
	s_delay_alu instid0(VALU_DEP_2) | instskip(SKIP_1) | instid1(VALU_DEP_3)
	v_cmp_lt_i32_e64 s0, 5, v28
	v_cmp_eq_u32_e64 s2, 3, v28
	v_cmp_lt_i32_e64 s4, 5, v3
	v_cmp_eq_u32_e64 s5, 3, v3
	v_lshrrev_b32_e32 v3, 2, v9
	s_delay_alu instid0(VALU_DEP_4) | instskip(SKIP_1) | instid1(VALU_DEP_3)
	s_or_b32 s0, s2, s0
	v_cndmask_b32_e64 v9, 0, 1, s3
	s_or_b32 s2, s5, s4
	s_wait_alu 0xfffe
	v_add_co_ci_u32_e64 v3, s0, 0, v3, s0
	v_cmp_gt_i32_e64 s0, 31, v5
	v_lshl_or_b32 v9, v9, 9, 0x7c00
	s_wait_alu 0xf1ff
	s_delay_alu instid0(VALU_DEP_2) | instskip(SKIP_3) | instid1(VALU_DEP_2)
	v_cndmask_b32_e64 v3, 0x7c00, v3, s0
	v_cmp_eq_u32_e64 s0, 0x40f, v5
	v_lshrrev_b32_e32 v5, 16, v19
	s_wait_alu 0xf1ff
	v_cndmask_b32_e64 v3, v3, v9, s0
	v_lshrrev_b32_e32 v9, 2, v18
	v_cmp_ne_u32_e64 s0, 0, v27
	s_delay_alu instid0(VALU_DEP_3) | instskip(NEXT) | instid1(VALU_DEP_3)
	v_and_or_b32 v3, 0x8000, v5, v3
	v_add_co_ci_u32_e64 v9, s2, 0, v9, s2
	v_cmp_gt_i32_e64 s2, 31, v26
	s_wait_alu 0xf1ff
	v_cndmask_b32_e64 v18, 0, 1, s0
	v_cmp_eq_u32_e64 s0, 0x40f, v26
	v_and_b32_e32 v3, 0xffff, v3
	v_cndmask_b32_e64 v9, 0x7c00, v9, s2
	s_delay_alu instid0(VALU_DEP_4) | instskip(SKIP_1) | instid1(VALU_DEP_1)
	v_lshl_or_b32 v18, v18, 9, 0x7c00
	s_wait_alu 0xf1ff
	v_cndmask_b32_e64 v9, v9, v18, s0
	v_lshrrev_b32_e32 v18, 16, v21
	v_add_co_u32 v28, s0, v12, s12
	s_wait_alu 0xf1ff
	v_add_co_ci_u32_e64 v29, s0, s13, v13, s0
	s_delay_alu instid0(VALU_DEP_3) | instskip(NEXT) | instid1(VALU_DEP_1)
	v_and_or_b32 v5, 0x8000, v18, v9
	v_lshl_or_b32 v3, v5, 16, v3
	global_store_b32 v[12:13], v3, off
	v_cvt_f32_f16_e32 v3, v34
	s_delay_alu instid0(VALU_DEP_1) | instskip(NEXT) | instid1(VALU_DEP_1)
	v_cvt_f64_f32_e32 v[12:13], v3
	v_mul_f64_e32 v[30:31], s[10:11], v[12:13]
	s_clause 0x1
	scratch_load_b32 v12, off, off offset:56 th:TH_LOAD_LU
	scratch_load_b32 v13, off, off offset:48 th:TH_LOAD_LU
	v_and_or_b32 v3, 0x1ff, v31, v30
	v_lshrrev_b32_e32 v5, 8, v31
	v_bfe_u32 v34, v31, 20, 11
	s_delay_alu instid0(VALU_DEP_3) | instskip(SKIP_1) | instid1(VALU_DEP_1)
	v_cmp_ne_u32_e64 s0, 0, v3
	s_wait_alu 0xf1ff
	v_cndmask_b32_e64 v3, 0, 1, s0
	s_delay_alu instid0(VALU_DEP_1) | instskip(SKIP_1) | instid1(VALU_DEP_2)
	v_and_or_b32 v30, 0xffe, v5, v3
	v_sub_nc_u32_e32 v3, 0x3f1, v34
	v_or_b32_e32 v5, 0x1000, v30
	s_delay_alu instid0(VALU_DEP_2) | instskip(NEXT) | instid1(VALU_DEP_1)
	v_med3_i32 v3, v3, 0, 13
	v_lshrrev_b32_e32 v37, v3, v5
	s_delay_alu instid0(VALU_DEP_1) | instskip(NEXT) | instid1(VALU_DEP_1)
	v_lshlrev_b32_e32 v3, v3, v37
	v_cmp_ne_u32_e64 s4, v3, v5
	scratch_load_b32 v5, off, off offset:60 th:TH_LOAD_LU ; 4-byte Folded Reload
	v_lshrrev_b32_e32 v3, 16, v6
	s_wait_loadcnt 0x0
	s_delay_alu instid0(VALU_DEP_1) | instskip(SKIP_1) | instid1(VALU_DEP_2)
	v_mul_f16_e32 v9, v5, v3
	v_mul_f16_e32 v5, v5, v6
	v_fmac_f16_e32 v9, v12, v6
	s_delay_alu instid0(VALU_DEP_2) | instskip(SKIP_1) | instid1(VALU_DEP_1)
	v_fma_f16 v38, v12, v3, -v5
	v_cvt_f32_f16_e32 v3, v35
	v_cvt_f64_f32_e32 v[5:6], v3
	s_delay_alu instid0(VALU_DEP_1) | instskip(NEXT) | instid1(VALU_DEP_1)
	v_mul_f64_e32 v[18:19], s[10:11], v[5:6]
	v_and_or_b32 v3, 0x1ff, v19, v18
	v_lshrrev_b32_e32 v5, 8, v19
	v_bfe_u32 v21, v19, 20, 11
	s_delay_alu instid0(VALU_DEP_3) | instskip(SKIP_1) | instid1(VALU_DEP_1)
	v_cmp_ne_u32_e64 s0, 0, v3
	s_wait_alu 0xf1ff
	v_cndmask_b32_e64 v3, 0, 1, s0
	s_delay_alu instid0(VALU_DEP_1) | instskip(SKIP_1) | instid1(VALU_DEP_2)
	v_and_or_b32 v3, 0xffe, v5, v3
	v_sub_nc_u32_e32 v5, 0x3f1, v21
	v_or_b32_e32 v6, 0x1000, v3
	s_delay_alu instid0(VALU_DEP_2) | instskip(NEXT) | instid1(VALU_DEP_1)
	v_med3_i32 v5, v5, 0, 13
	v_lshrrev_b32_e32 v26, v5, v6
	s_delay_alu instid0(VALU_DEP_1) | instskip(NEXT) | instid1(VALU_DEP_1)
	v_lshlrev_b32_e32 v5, v5, v26
	v_cmp_ne_u32_e64 s2, v5, v6
	v_cvt_f32_f16_e32 v5, v36
	s_delay_alu instid0(VALU_DEP_1) | instskip(NEXT) | instid1(VALU_DEP_1)
	v_cvt_f64_f32_e32 v[5:6], v5
	v_mul_f64_e32 v[5:6], s[10:11], v[5:6]
	s_delay_alu instid0(VALU_DEP_1) | instskip(SKIP_2) | instid1(VALU_DEP_3)
	v_and_or_b32 v5, 0x1ff, v6, v5
	v_lshrrev_b32_e32 v12, 8, v6
	v_bfe_u32 v27, v6, 20, 11
	v_cmp_ne_u32_e64 s0, 0, v5
	s_wait_alu 0xf1ff
	s_delay_alu instid0(VALU_DEP_1) | instskip(NEXT) | instid1(VALU_DEP_1)
	v_cndmask_b32_e64 v5, 0, 1, s0
	v_and_or_b32 v18, 0xffe, v12, v5
	v_sub_nc_u32_e32 v5, 0x3f1, v27
	s_delay_alu instid0(VALU_DEP_2) | instskip(NEXT) | instid1(VALU_DEP_2)
	v_or_b32_e32 v12, 0x1000, v18
	v_med3_i32 v5, v5, 0, 13
	s_delay_alu instid0(VALU_DEP_1) | instskip(NEXT) | instid1(VALU_DEP_1)
	v_lshrrev_b32_e32 v35, v5, v12
	v_lshlrev_b32_e32 v5, v5, v35
	s_delay_alu instid0(VALU_DEP_1) | instskip(SKIP_3) | instid1(VALU_DEP_1)
	v_cmp_ne_u32_e64 s3, v5, v12
	scratch_load_b32 v12, off, off offset:52 th:TH_LOAD_LU ; 4-byte Folded Reload
	v_lshrrev_b32_e32 v5, 16, v17
	s_wait_loadcnt 0x0
	v_mul_f16_e32 v36, v12, v5
	v_mul_f16_e32 v12, v12, v17
	s_delay_alu instid0(VALU_DEP_2) | instskip(NEXT) | instid1(VALU_DEP_2)
	v_fmac_f16_e32 v36, v13, v17
	v_fma_f16 v17, v13, v5, -v12
	v_cvt_f32_f16_e32 v5, v9
	s_delay_alu instid0(VALU_DEP_1) | instskip(NEXT) | instid1(VALU_DEP_1)
	v_cvt_f64_f32_e32 v[12:13], v5
	v_mul_f64_e32 v[12:13], s[10:11], v[12:13]
	s_delay_alu instid0(VALU_DEP_1) | instskip(SKIP_1) | instid1(VALU_DEP_2)
	v_and_or_b32 v5, 0x1ff, v13, v12
	v_lshrrev_b32_e32 v9, 8, v13
	v_cmp_ne_u32_e64 s0, 0, v5
	s_wait_alu 0xf1ff
	s_delay_alu instid0(VALU_DEP_1) | instskip(NEXT) | instid1(VALU_DEP_1)
	v_cndmask_b32_e64 v5, 0, 1, s0
	v_and_or_b32 v5, 0xffe, v9, v5
	v_bfe_u32 v9, v13, 20, 11
	s_delay_alu instid0(VALU_DEP_2) | instskip(NEXT) | instid1(VALU_DEP_2)
	v_or_b32_e32 v33, 0x1000, v5
	v_sub_nc_u32_e32 v12, 0x3f1, v9
	v_add_nc_u32_e32 v9, 0xfffffc10, v9
	s_delay_alu instid0(VALU_DEP_2) | instskip(NEXT) | instid1(VALU_DEP_1)
	v_med3_i32 v32, v12, 0, 13
	v_lshrrev_b32_e32 v12, v32, v33
	s_delay_alu instid0(VALU_DEP_1) | instskip(NEXT) | instid1(VALU_DEP_1)
	v_lshlrev_b32_e32 v32, v32, v12
	v_cmp_ne_u32_e64 s0, v32, v33
	v_cvt_f64_f32_e32 v[32:33], v7
	s_delay_alu instid0(VALU_DEP_1) | instskip(NEXT) | instid1(VALU_DEP_1)
	v_mul_f64_e32 v[32:33], s[10:11], v[32:33]
	v_and_or_b32 v7, 0x1ff, v33, v32
	v_lshrrev_b32_e32 v23, 8, v33
	s_delay_alu instid0(VALU_DEP_2) | instskip(SKIP_1) | instid1(VALU_DEP_1)
	v_cmp_ne_u32_e64 s5, 0, v7
	s_wait_alu 0xf1ff
	v_cndmask_b32_e64 v7, 0, 1, s5
	s_delay_alu instid0(VALU_DEP_1) | instskip(SKIP_1) | instid1(VALU_DEP_2)
	v_and_or_b32 v7, 0xffe, v23, v7
	v_bfe_u32 v23, v33, 20, 11
	v_or_b32_e32 v39, 0x1000, v7
	s_delay_alu instid0(VALU_DEP_2) | instskip(SKIP_1) | instid1(VALU_DEP_2)
	v_sub_nc_u32_e32 v32, 0x3f1, v23
	v_add_nc_u32_e32 v23, 0xfffffc10, v23
	v_med3_i32 v32, v32, 0, 13
	s_delay_alu instid0(VALU_DEP_1) | instskip(NEXT) | instid1(VALU_DEP_1)
	v_lshrrev_b32_e32 v40, v32, v39
	v_lshlrev_b32_e32 v32, v32, v40
	s_delay_alu instid0(VALU_DEP_1) | instskip(SKIP_2) | instid1(VALU_DEP_2)
	v_cmp_ne_u32_e64 s5, v32, v39
	v_lshl_or_b32 v39, v23, 12, v7
	s_wait_alu 0xf1ff
	v_cndmask_b32_e64 v32, 0, 1, s5
	v_cmp_gt_i32_e64 s5, 1, v23
	s_delay_alu instid0(VALU_DEP_2) | instskip(SKIP_1) | instid1(VALU_DEP_1)
	v_or_b32_e32 v32, v40, v32
	s_wait_alu 0xf1ff
	v_cndmask_b32_e64 v32, v39, v32, s5
	s_delay_alu instid0(VALU_DEP_1) | instskip(NEXT) | instid1(VALU_DEP_1)
	v_and_b32_e32 v39, 7, v32
	v_cmp_lt_i32_e64 s5, 5, v39
	v_cmp_eq_u32_e64 s6, 3, v39
	s_wait_alu 0xfffd
	v_cndmask_b32_e64 v39, 0, 1, vcc_lo
	v_cmp_ne_u32_e32 vcc_lo, 0, v7
	v_add_nc_u32_e32 v7, 0xfffffc10, v20
	s_or_b32 s5, s6, s5
	s_delay_alu instid0(VALU_DEP_3) | instskip(SKIP_1) | instid1(VALU_DEP_3)
	v_or_b32_e32 v22, v22, v39
	v_cmp_ne_u32_e64 s6, 0, v1
	v_lshl_or_b32 v20, v7, 12, v1
	v_cmp_gt_i32_e64 s7, 1, v7
	v_lshrrev_b32_e32 v1, 16, v33
	s_wait_alu 0xf1ff
	s_delay_alu instid0(VALU_DEP_2)
	v_cndmask_b32_e64 v20, v20, v22, s7
	v_lshrrev_b32_e32 v22, 2, v32
	s_wait_alu 0xfffd
	v_cndmask_b32_e64 v32, 0, 1, vcc_lo
	v_cmp_eq_u32_e32 vcc_lo, 0x40f, v23
	s_wait_alu 0xfffe
	v_add_co_ci_u32_e64 v22, s5, 0, v22, s5
	v_cmp_gt_i32_e64 s5, 31, v23
	v_lshl_or_b32 v32, v32, 9, 0x7c00
	v_and_b32_e32 v23, 7, v20
	v_lshrrev_b32_e32 v20, 2, v20
	s_wait_alu 0xf1ff
	v_cndmask_b32_e64 v22, 0x7c00, v22, s5
	s_delay_alu instid0(VALU_DEP_3) | instskip(SKIP_1) | instid1(VALU_DEP_2)
	v_cmp_eq_u32_e64 s5, 3, v23
	s_wait_alu 0xfffd
	v_cndmask_b32_e32 v22, v22, v32, vcc_lo
	v_cmp_lt_i32_e32 vcc_lo, 5, v23
	v_cndmask_b32_e64 v23, 0, 1, s6
	s_delay_alu instid0(VALU_DEP_3) | instskip(SKIP_1) | instid1(VALU_DEP_2)
	v_and_or_b32 v1, 0x8000, v1, v22
	s_or_b32 vcc_lo, s5, vcc_lo
	v_lshl_or_b32 v23, v23, 9, 0x7c00
	s_wait_alu 0xfffe
	v_add_co_ci_u32_e32 v20, vcc_lo, 0, v20, vcc_lo
	v_cmp_gt_i32_e32 vcc_lo, 31, v7
	v_and_b32_e32 v1, 0xffff, v1
	s_wait_alu 0xfffd
	s_delay_alu instid0(VALU_DEP_3) | instskip(SKIP_2) | instid1(VALU_DEP_2)
	v_cndmask_b32_e32 v20, 0x7c00, v20, vcc_lo
	v_cmp_eq_u32_e32 vcc_lo, 0x40f, v7
	s_wait_alu 0xfffd
	v_dual_cndmask_b32 v7, v20, v23 :: v_dual_add_nc_u32 v20, 0xfffffc10, v24
	scratch_load_b32 v24, off, off offset:44 th:TH_LOAD_LU ; 4-byte Folded Reload
	v_and_or_b32 v7, 0x8000, v14, v7
	v_cndmask_b32_e64 v14, 0, 1, s1
	v_lshl_or_b32 v22, v20, 12, v15
	v_cmp_gt_i32_e32 vcc_lo, 1, v20
	s_delay_alu instid0(VALU_DEP_4) | instskip(NEXT) | instid1(VALU_DEP_4)
	v_lshl_or_b32 v1, v7, 16, v1
	v_or_b32_e32 v14, v25, v14
	scratch_load_b32 v25, off, off offset:40 th:TH_LOAD_LU ; 4-byte Folded Reload
	global_store_b32 v[28:29], v1, off
	s_wait_alu 0xfffd
	v_cndmask_b32_e32 v14, v22, v14, vcc_lo
	s_delay_alu instid0(VALU_DEP_1) | instskip(SKIP_1) | instid1(VALU_DEP_2)
	v_and_b32_e32 v7, 7, v14
	v_lshrrev_b32_e32 v14, 2, v14
	v_cmp_lt_i32_e32 vcc_lo, 5, v7
	v_cmp_eq_u32_e64 s1, 3, v7
	v_cndmask_b32_e64 v7, 0, 1, s4
	v_cmp_ne_u32_e64 s4, 0, v15
	v_add_nc_u32_e32 v15, 0xfffffc10, v34
	s_delay_alu instid0(VALU_DEP_4) | instskip(NEXT) | instid1(VALU_DEP_3)
	s_or_b32 vcc_lo, s1, vcc_lo
	v_or_b32_e32 v7, v37, v7
	s_wait_alu 0xfffe
	v_add_co_ci_u32_e32 v14, vcc_lo, 0, v14, vcc_lo
	v_lshl_or_b32 v22, v15, 12, v30
	v_cmp_gt_i32_e64 s5, 1, v15
	v_cmp_gt_i32_e32 vcc_lo, 31, v20
	s_wait_alu 0xf1ff
	s_delay_alu instid0(VALU_DEP_2)
	v_cndmask_b32_e64 v7, v22, v7, s5
	v_cndmask_b32_e64 v22, 0, 1, s4
	s_wait_alu 0xfffd
	v_cndmask_b32_e32 v14, 0x7c00, v14, vcc_lo
	v_cmp_eq_u32_e32 vcc_lo, 0x40f, v20
	v_cmp_ne_u32_e64 s4, 0, v30
	v_and_b32_e32 v20, 7, v7
	v_lshl_or_b32 v22, v22, 9, 0x7c00
	v_lshrrev_b32_e32 v7, 2, v7
	s_delay_alu instid0(VALU_DEP_3) | instskip(SKIP_1) | instid1(VALU_DEP_3)
	v_cmp_eq_u32_e64 s1, 3, v20
	s_wait_alu 0xfffd
	v_cndmask_b32_e32 v14, v14, v22, vcc_lo
	v_cmp_lt_i32_e32 vcc_lo, 5, v20
	s_wait_alu 0xf1ff
	v_cndmask_b32_e64 v20, 0, 1, s4
	s_delay_alu instid0(VALU_DEP_3) | instskip(SKIP_1) | instid1(VALU_DEP_2)
	v_and_or_b32 v14, 0x8000, v16, v14
	s_or_b32 vcc_lo, s1, vcc_lo
	v_lshl_or_b32 v20, v20, 9, 0x7c00
	s_wait_alu 0xfffe
	v_add_co_ci_u32_e32 v7, vcc_lo, 0, v7, vcc_lo
	v_cmp_gt_i32_e32 vcc_lo, 31, v15
	s_wait_alu 0xfffd
	s_delay_alu instid0(VALU_DEP_2) | instskip(SKIP_3) | instid1(VALU_DEP_3)
	v_cndmask_b32_e32 v7, 0x7c00, v7, vcc_lo
	v_cmp_eq_u32_e32 vcc_lo, 0x40f, v15
	v_lshrrev_b32_e32 v15, 16, v31
	s_wait_alu 0xfffd
	v_cndmask_b32_e32 v7, v7, v20, vcc_lo
	s_delay_alu instid0(VALU_DEP_1)
	v_and_or_b32 v1, 0x8000, v15, v7
	v_and_b32_e32 v7, 0xffff, v14
	v_mad_co_u64_u32 v[14:15], null, 0xffffc928, s8, v[28:29]
	scratch_load_b32 v29, off, off offset:12 th:TH_LOAD_LU ; 4-byte Folded Reload
	v_lshl_or_b32 v1, v1, 16, v7
	v_add_nc_u32_e32 v15, s9, v15
	global_store_b32 v[14:15], v1, off
	v_cvt_f32_f16_e32 v1, v38
	v_add_co_u32 v14, vcc_lo, v14, s12
	s_wait_alu 0xfffd
	v_add_co_ci_u32_e32 v15, vcc_lo, s13, v15, vcc_lo
	s_delay_alu instid0(VALU_DEP_3) | instskip(NEXT) | instid1(VALU_DEP_1)
	v_cvt_f64_f32_e32 v[22:23], v1
	v_mul_f64_e32 v[22:23], s[10:11], v[22:23]
	s_delay_alu instid0(VALU_DEP_1) | instskip(SKIP_3) | instid1(VALU_DEP_4)
	v_and_or_b32 v1, 0x1ff, v23, v22
	v_lshrrev_b32_e32 v7, 8, v23
	v_bfe_u32 v16, v23, 20, 11
	v_lshrrev_b32_e32 v23, 16, v23
	v_cmp_ne_u32_e32 vcc_lo, 0, v1
	s_wait_alu 0xfffd
	v_cndmask_b32_e64 v1, 0, 1, vcc_lo
	s_delay_alu instid0(VALU_DEP_1) | instskip(SKIP_1) | instid1(VALU_DEP_2)
	v_and_or_b32 v1, 0xffe, v7, v1
	v_sub_nc_u32_e32 v7, 0x3f1, v16
	v_or_b32_e32 v20, 0x1000, v1
	s_delay_alu instid0(VALU_DEP_2) | instskip(NEXT) | instid1(VALU_DEP_1)
	v_med3_i32 v7, v7, 0, 13
	v_lshrrev_b32_e32 v22, v7, v20
	s_delay_alu instid0(VALU_DEP_1) | instskip(NEXT) | instid1(VALU_DEP_1)
	v_lshlrev_b32_e32 v7, v7, v22
	v_cmp_ne_u32_e32 vcc_lo, v7, v20
	v_lshrrev_b32_e32 v7, 16, v4
	s_wait_loadcnt 0x2
	s_delay_alu instid0(VALU_DEP_1) | instskip(SKIP_2) | instid1(VALU_DEP_2)
	v_mul_f16_e32 v20, v24, v7
	v_mul_f16_e32 v24, v24, v4
	s_wait_loadcnt 0x1
	v_fmac_f16_e32 v20, v25, v4
	v_cvt_f32_f16_e32 v4, v36
	s_delay_alu instid0(VALU_DEP_3) | instskip(NEXT) | instid1(VALU_DEP_2)
	v_fma_f16 v28, v25, v7, -v24
	v_cvt_f64_f32_e32 v[24:25], v4
	s_delay_alu instid0(VALU_DEP_1) | instskip(NEXT) | instid1(VALU_DEP_1)
	v_mul_f64_e32 v[24:25], s[10:11], v[24:25]
	v_and_or_b32 v4, 0x1ff, v25, v24
	v_lshrrev_b32_e32 v7, 8, v25
	s_delay_alu instid0(VALU_DEP_2) | instskip(SKIP_1) | instid1(VALU_DEP_1)
	v_cmp_ne_u32_e64 s1, 0, v4
	s_wait_alu 0xf1ff
	v_cndmask_b32_e64 v4, 0, 1, s1
	s_delay_alu instid0(VALU_DEP_1) | instskip(SKIP_2) | instid1(VALU_DEP_2)
	v_and_or_b32 v24, 0xffe, v7, v4
	v_cndmask_b32_e64 v4, 0, 1, s2
	v_add_nc_u32_e32 v7, 0xfffffc10, v21
	v_or_b32_e32 v4, v26, v4
	s_delay_alu instid0(VALU_DEP_2) | instskip(SKIP_3) | instid1(VALU_DEP_2)
	v_lshl_or_b32 v21, v7, 12, v3
	v_cmp_gt_i32_e64 s1, 1, v7
	v_add_nc_u32_e32 v26, 0xfffffc10, v27
	s_wait_alu 0xf1ff
	v_cndmask_b32_e64 v4, v21, v4, s1
	v_cndmask_b32_e64 v21, 0, 1, s3
	s_delay_alu instid0(VALU_DEP_3) | instskip(SKIP_2) | instid1(VALU_DEP_4)
	v_lshl_or_b32 v27, v26, 12, v18
	v_cmp_gt_i32_e64 s1, 1, v26
	v_cmp_ne_u32_e64 s3, 0, v3
	v_or_b32_e32 v21, v35, v21
	s_wait_alu 0xf1ff
	s_delay_alu instid0(VALU_DEP_1) | instskip(SKIP_1) | instid1(VALU_DEP_2)
	v_cndmask_b32_e64 v21, v27, v21, s1
	v_and_b32_e32 v27, 7, v4
	v_and_b32_e32 v3, 7, v21
	s_delay_alu instid0(VALU_DEP_2) | instskip(SKIP_2) | instid1(VALU_DEP_4)
	v_cmp_lt_i32_e64 s1, 5, v27
	v_cmp_eq_u32_e64 s2, 3, v27
	v_lshrrev_b32_e32 v27, 16, v19
	v_cmp_lt_i32_e64 s4, 5, v3
	v_cmp_eq_u32_e64 s5, 3, v3
	v_lshrrev_b32_e32 v3, 2, v4
	s_or_b32 s1, s2, s1
	v_cndmask_b32_e64 v4, 0, 1, s3
	s_delay_alu instid0(VALU_DEP_3)
	s_or_b32 s2, s5, s4
	s_wait_alu 0xfffe
	v_add_co_ci_u32_e64 v3, s1, 0, v3, s1
	v_cmp_gt_i32_e64 s1, 31, v7
	v_lshl_or_b32 v4, v4, 9, 0x7c00
	s_wait_alu 0xf1ff
	s_delay_alu instid0(VALU_DEP_2) | instskip(SKIP_2) | instid1(VALU_DEP_1)
	v_cndmask_b32_e64 v3, 0x7c00, v3, s1
	v_cmp_eq_u32_e64 s1, 0x40f, v7
	s_wait_alu 0xf1ff
	v_cndmask_b32_e64 v7, v3, v4, s1
	v_lshrrev_b32_e32 v3, 2, v21
	v_cmp_ne_u32_e64 s1, 0, v18
	v_cvt_f32_f16_e32 v18, v20
	v_bfe_u32 v21, v25, 20, 11
	v_lshrrev_b32_e32 v25, 16, v25
	v_add_co_ci_u32_e64 v3, s2, 0, v3, s2
	v_cmp_gt_i32_e64 s2, 31, v26
	s_wait_alu 0xf1ff
	v_cndmask_b32_e64 v4, 0, 1, s1
	v_cmp_eq_u32_e64 s1, 0x40f, v26
	s_delay_alu instid0(VALU_DEP_3) | instskip(NEXT) | instid1(VALU_DEP_3)
	v_cndmask_b32_e64 v3, 0x7c00, v3, s2
	v_lshl_or_b32 v4, v4, 9, 0x7c00
	s_wait_alu 0xf1ff
	s_delay_alu instid0(VALU_DEP_1) | instskip(SKIP_1) | instid1(VALU_DEP_1)
	v_cndmask_b32_e64 v20, v3, v4, s1
	v_cvt_f64_f32_e32 v[3:4], v18
	v_mul_f64_e32 v[18:19], s[10:11], v[3:4]
	v_lshrrev_b32_e32 v3, 16, v6
	v_sub_nc_u32_e32 v6, 0x3f1, v21
	v_and_or_b32 v4, 0x8000, v27, v7
	v_or_b32_e32 v7, 0x1000, v24
	scratch_load_b32 v27, off, off offset:32 th:TH_LOAD_LU ; 4-byte Folded Reload
	v_and_or_b32 v3, 0x8000, v3, v20
	v_med3_i32 v6, v6, 0, 13
	v_and_b32_e32 v4, 0xffff, v4
	v_add_nc_u32_e32 v21, 0xfffffc10, v21
	s_delay_alu instid0(VALU_DEP_3) | instskip(NEXT) | instid1(VALU_DEP_3)
	v_lshrrev_b32_e32 v20, v6, v7
	v_lshl_or_b32 v3, v3, 16, v4
	s_delay_alu instid0(VALU_DEP_2)
	v_lshlrev_b32_e32 v4, v6, v20
	global_store_b32 v[14:15], v3, off
	v_add_co_u32 v3, s2, v14, s12
	v_lshrrev_b32_e32 v6, 16, v11
	v_cmp_ne_u32_e64 s1, v4, v7
	s_wait_alu 0xf1ff
	v_add_co_ci_u32_e64 v4, s2, s13, v15, s2
	scratch_load_b32 v15, off, off offset:36 th:TH_LOAD_LU ; 4-byte Folded Reload
	v_and_or_b32 v7, 0x1ff, v19, v18
	v_bfe_u32 v18, v19, 20, 11
	s_delay_alu instid0(VALU_DEP_2) | instskip(SKIP_1) | instid1(VALU_DEP_1)
	v_cmp_ne_u32_e64 s2, 0, v7
	s_wait_alu 0xf1ff
	v_cndmask_b32_e64 v7, 0, 1, s2
	s_wait_loadcnt 0x0
	v_mul_f16_e32 v14, v15, v6
	v_mul_f16_e32 v15, v15, v11
	s_delay_alu instid0(VALU_DEP_2) | instskip(SKIP_1) | instid1(VALU_DEP_3)
	v_fmac_f16_e32 v14, v27, v11
	v_lshrrev_b32_e32 v11, 8, v19
	v_fma_f16 v15, v27, v6, -v15
	s_delay_alu instid0(VALU_DEP_3) | instskip(NEXT) | instid1(VALU_DEP_3)
	v_cvt_f32_f16_e32 v14, v14
	v_and_or_b32 v26, 0xffe, v11, v7
	v_sub_nc_u32_e32 v7, 0x3f1, v18
	v_cvt_f32_f16_e32 v11, v17
	v_add_nc_u32_e32 v18, 0xfffffc10, v18
	s_delay_alu instid0(VALU_DEP_3) | instskip(SKIP_1) | instid1(VALU_DEP_1)
	v_med3_i32 v6, v7, 0, 13
	v_or_b32_e32 v7, 0x1000, v26
	v_lshrrev_b32_e32 v27, v6, v7
	s_delay_alu instid0(VALU_DEP_1) | instskip(NEXT) | instid1(VALU_DEP_1)
	v_lshlrev_b32_e32 v6, v6, v27
	v_cmp_ne_u32_e64 s2, v6, v7
	v_cvt_f64_f32_e32 v[6:7], v11
	s_delay_alu instid0(VALU_DEP_1) | instskip(NEXT) | instid1(VALU_DEP_1)
	v_mul_f64_e32 v[6:7], s[10:11], v[6:7]
	v_and_or_b32 v6, 0x1ff, v7, v6
	v_lshrrev_b32_e32 v11, 8, v7
	s_delay_alu instid0(VALU_DEP_2) | instskip(SKIP_1) | instid1(VALU_DEP_1)
	v_cmp_ne_u32_e64 s3, 0, v6
	s_wait_alu 0xf1ff
	v_cndmask_b32_e64 v6, 0, 1, s3
	s_delay_alu instid0(VALU_DEP_1) | instskip(SKIP_3) | instid1(VALU_DEP_3)
	v_and_or_b32 v17, 0xffe, v11, v6
	v_cndmask_b32_e64 v6, 0, 1, s0
	v_lshl_or_b32 v11, v9, 12, v5
	v_cmp_gt_i32_e64 s0, 1, v9
	v_or_b32_e32 v6, v12, v6
	s_wait_alu 0xf1ff
	s_delay_alu instid0(VALU_DEP_1) | instskip(SKIP_1) | instid1(VALU_DEP_1)
	v_cndmask_b32_e64 v6, v11, v6, s0
	v_cvt_f32_f16_e32 v11, v28
	v_cvt_f64_f32_e32 v[11:12], v11
	s_delay_alu instid0(VALU_DEP_1) | instskip(NEXT) | instid1(VALU_DEP_1)
	v_mul_f64_e32 v[11:12], s[10:11], v[11:12]
	v_and_or_b32 v11, 0x1ff, v12, v11
	v_lshrrev_b32_e32 v28, 8, v12
	s_delay_alu instid0(VALU_DEP_2) | instskip(SKIP_1) | instid1(VALU_DEP_1)
	v_cmp_ne_u32_e64 s0, 0, v11
	s_wait_alu 0xf1ff
	v_cndmask_b32_e64 v11, 0, 1, s0
	s_delay_alu instid0(VALU_DEP_1) | instskip(SKIP_2) | instid1(VALU_DEP_2)
	v_and_or_b32 v11, 0xffe, v28, v11
	v_and_b32_e32 v28, 7, v6
	v_lshrrev_b32_e32 v6, 2, v6
	v_cmp_lt_i32_e64 s0, 5, v28
	v_cmp_eq_u32_e64 s3, 3, v28
	s_wait_alu 0xfffd
	v_cndmask_b32_e64 v28, 0, 1, vcc_lo
	v_cmp_ne_u32_e32 vcc_lo, 0, v5
	v_add_nc_u32_e32 v5, 0xfffffc10, v16
	s_or_b32 s0, s3, s0
	s_delay_alu instid0(VALU_DEP_3)
	v_or_b32_e32 v22, v22, v28
	s_wait_alu 0xfffe
	v_add_co_ci_u32_e64 v6, s0, 0, v6, s0
	v_lshl_or_b32 v16, v5, 12, v1
	v_cmp_gt_i32_e64 s4, 1, v5
	v_cmp_gt_i32_e64 s0, 31, v9
	s_wait_alu 0xf1ff
	s_delay_alu instid0(VALU_DEP_2)
	v_cndmask_b32_e64 v16, v16, v22, s4
	s_wait_alu 0xfffd
	v_cndmask_b32_e64 v22, 0, 1, vcc_lo
	v_cndmask_b32_e64 v6, 0x7c00, v6, s0
	v_cmp_eq_u32_e32 vcc_lo, 0x40f, v9
	v_lshrrev_b32_e32 v9, 16, v13
	v_and_b32_e32 v13, 7, v16
	v_lshl_or_b32 v22, v22, 9, 0x7c00
	v_lshrrev_b32_e32 v16, 2, v16
	s_delay_alu instid0(VALU_DEP_3) | instskip(SKIP_1) | instid1(VALU_DEP_3)
	v_cmp_eq_u32_e64 s0, 3, v13
	s_wait_alu 0xfffd
	v_cndmask_b32_e32 v6, v6, v22, vcc_lo
	v_cmp_lt_i32_e32 vcc_lo, 5, v13
	v_bfe_u32 v13, v7, 20, 11
	v_or_b32_e32 v22, 0x1000, v17
	v_lshrrev_b32_e32 v7, 16, v7
	v_and_or_b32 v9, 0x8000, v9, v6
	s_or_b32 vcc_lo, s0, vcc_lo
	v_sub_nc_u32_e32 v6, 0x3f1, v13
	s_wait_alu 0xfffe
	v_add_co_ci_u32_e32 v16, vcc_lo, 0, v16, vcc_lo
	v_cmp_ne_u32_e32 vcc_lo, 0, v1
	v_and_b32_e32 v9, 0xffff, v9
	v_med3_i32 v6, v6, 0, 13
	s_wait_alu 0xfffd
	v_cndmask_b32_e64 v1, 0, 1, vcc_lo
	v_cmp_gt_i32_e32 vcc_lo, 31, v5
	s_delay_alu instid0(VALU_DEP_2)
	v_lshl_or_b32 v1, v1, 9, 0x7c00
	s_wait_alu 0xfffd
	v_cndmask_b32_e32 v16, 0x7c00, v16, vcc_lo
	v_cmp_eq_u32_e32 vcc_lo, 0x40f, v5
	v_cndmask_b32_e64 v5, 0, 1, s1
	s_wait_alu 0xfffd
	s_delay_alu instid0(VALU_DEP_3) | instskip(SKIP_1) | instid1(VALU_DEP_3)
	v_cndmask_b32_e32 v1, v16, v1, vcc_lo
	v_lshrrev_b32_e32 v16, v6, v22
	v_or_b32_e32 v20, v20, v5
	s_delay_alu instid0(VALU_DEP_3) | instskip(NEXT) | instid1(VALU_DEP_3)
	v_and_or_b32 v1, 0x8000, v23, v1
	v_lshlrev_b32_e32 v28, v6, v16
	v_cvt_f64_f32_e32 v[5:6], v14
	v_bfe_u32 v23, v12, 20, 11
	s_delay_alu instid0(VALU_DEP_4) | instskip(NEXT) | instid1(VALU_DEP_4)
	v_lshl_or_b32 v1, v1, 16, v9
	v_cmp_ne_u32_e32 vcc_lo, v28, v22
	v_add_nc_u32_e32 v22, 0xfffffc10, v13
	v_lshl_or_b32 v13, v21, 12, v24
	v_or_b32_e32 v28, 0x1000, v11
	global_store_b32 v[3:4], v1, off
	s_wait_alu 0xfffd
	v_cndmask_b32_e64 v14, 0, 1, vcc_lo
	v_cmp_gt_i32_e32 vcc_lo, 1, v21
	s_delay_alu instid0(VALU_DEP_2)
	v_or_b32_e32 v14, v16, v14
	v_lshl_or_b32 v16, v22, 12, v17
	s_wait_alu 0xfffd
	v_cndmask_b32_e32 v13, v13, v20, vcc_lo
	v_cmp_gt_i32_e32 vcc_lo, 1, v22
	v_sub_nc_u32_e32 v20, 0x3f1, v23
	s_wait_alu 0xfffd
	v_cndmask_b32_e32 v16, v16, v14, vcc_lo
	v_and_b32_e32 v14, 7, v13
	v_lshrrev_b32_e32 v13, 2, v13
	v_med3_i32 v20, v20, 0, 13
	s_delay_alu instid0(VALU_DEP_4) | instskip(NEXT) | instid1(VALU_DEP_4)
	v_and_b32_e32 v9, 7, v16
	v_cmp_lt_i32_e32 vcc_lo, 5, v14
	v_cmp_eq_u32_e64 s0, 3, v14
	v_cvt_f32_f16_e32 v14, v15
	s_delay_alu instid0(VALU_DEP_4) | instskip(SKIP_1) | instid1(VALU_DEP_4)
	v_cmp_lt_i32_e64 s1, 5, v9
	v_cmp_eq_u32_e64 s3, 3, v9
	s_or_b32 vcc_lo, s0, vcc_lo
	s_wait_alu 0xfffe
	v_add_co_ci_u32_e32 v9, vcc_lo, 0, v13, vcc_lo
	v_cmp_ne_u32_e32 vcc_lo, 0, v24
	v_lshrrev_b32_e32 v24, v20, v28
	v_mul_f64_e32 v[5:6], s[10:11], v[5:6]
	s_wait_alu 0xfffd
	v_cndmask_b32_e64 v13, 0, 1, vcc_lo
	v_cmp_gt_i32_e32 vcc_lo, 31, v21
	v_lshlrev_b32_e32 v20, v20, v24
	s_delay_alu instid0(VALU_DEP_3)
	v_lshl_or_b32 v15, v13, 9, 0x7c00
	s_wait_alu 0xfffd
	v_cndmask_b32_e32 v9, 0x7c00, v9, vcc_lo
	v_cmp_eq_u32_e32 vcc_lo, 0x40f, v21
	v_lshl_or_b32 v21, v18, 12, v26
	v_cvt_f64_f32_e32 v[13:14], v14
	s_wait_alu 0xfffd
	v_cndmask_b32_e32 v9, v9, v15, vcc_lo
	v_lshrrev_b32_e32 v15, 2, v16
	s_or_b32 vcc_lo, s3, s1
	v_cndmask_b32_e64 v16, 0, 1, s2
	s_delay_alu instid0(VALU_DEP_3)
	v_and_or_b32 v9, 0x8000, v25, v9
	s_wait_alu 0xfffe
	v_add_co_ci_u32_e32 v15, vcc_lo, 0, v15, vcc_lo
	v_cmp_ne_u32_e32 vcc_lo, 0, v17
	v_or_b32_e32 v16, v27, v16
	scratch_load_b32 v27, off, off offset:24 th:TH_LOAD_LU ; 4-byte Folded Reload
	v_and_b32_e32 v9, 0xffff, v9
	s_wait_alu 0xfffd
	v_cndmask_b32_e64 v17, 0, 1, vcc_lo
	v_cmp_gt_i32_e32 vcc_lo, 31, v22
	s_delay_alu instid0(VALU_DEP_2)
	v_lshl_or_b32 v17, v17, 9, 0x7c00
	s_wait_alu 0xfffd
	v_cndmask_b32_e32 v15, 0x7c00, v15, vcc_lo
	v_cmp_gt_i32_e32 vcc_lo, 1, v18
	v_and_or_b32 v1, 0x1ff, v6, v5
	s_wait_alu 0xfffd
	v_cndmask_b32_e32 v16, v21, v16, vcc_lo
	v_cmp_eq_u32_e32 vcc_lo, 0x40f, v22
	s_delay_alu instid0(VALU_DEP_3) | instskip(NEXT) | instid1(VALU_DEP_3)
	v_cmp_ne_u32_e64 s1, 0, v1
	v_and_b32_e32 v21, 7, v16
	s_wait_alu 0xfffd
	v_cndmask_b32_e32 v15, v15, v17, vcc_lo
	v_cmp_ne_u32_e32 vcc_lo, v20, v28
	v_add_nc_u32_e32 v20, 0xfffffc10, v23
	v_lshrrev_b32_e32 v16, 2, v16
	v_mul_f64_e32 v[13:14], s[10:11], v[13:14]
	v_and_or_b32 v7, 0x8000, v7, v15
	s_wait_alu 0xfffd
	v_cndmask_b32_e64 v17, 0, 1, vcc_lo
	v_lshl_or_b32 v22, v20, 12, v11
	v_cmp_gt_i32_e64 s0, 1, v20
	v_cmp_lt_i32_e32 vcc_lo, 5, v21
	s_wait_alu 0xf1ff
	v_cndmask_b32_e64 v1, 0, 1, s1
	v_or_b32_e32 v17, v24, v17
	scratch_load_b32 v24, off, off offset:28 th:TH_LOAD_LU ; 4-byte Folded Reload
	v_lshl_or_b32 v7, v7, 16, v9
	scratch_load_b32 v28, off, off offset:8 th:TH_LOAD_LU ; 4-byte Folded Reload
	v_cndmask_b32_e64 v15, v22, v17, s0
	v_lshrrev_b32_e32 v17, 16, v0
	v_cmp_eq_u32_e64 s0, 3, v21
	v_bfe_u32 v22, v6, 20, 11
	s_delay_alu instid0(VALU_DEP_4) | instskip(SKIP_1) | instid1(VALU_DEP_4)
	v_and_b32_e32 v5, 7, v15
	v_lshrrev_b32_e32 v15, 2, v15
	s_or_b32 vcc_lo, s0, vcc_lo
	s_delay_alu instid0(VALU_DEP_3)
	v_sub_nc_u32_e32 v25, 0x3f1, v22
	s_wait_alu 0xfffe
	v_add_co_ci_u32_e32 v16, vcc_lo, 0, v16, vcc_lo
	v_cmp_lt_i32_e64 s1, 5, v5
	v_cmp_eq_u32_e64 s2, 3, v5
	v_lshrrev_b32_e32 v5, 8, v6
	v_cmp_ne_u32_e32 vcc_lo, 0, v26
	v_med3_i32 v25, v25, 0, 13
	v_add_nc_u32_e32 v22, 0xfffffc10, v22
	s_delay_alu instid0(VALU_DEP_4) | instskip(SKIP_3) | instid1(VALU_DEP_2)
	v_and_or_b32 v5, 0xffe, v5, v1
	s_wait_alu 0xfffd
	v_cndmask_b32_e64 v1, 0, 1, vcc_lo
	v_cmp_gt_i32_e32 vcc_lo, 31, v18
	v_lshl_or_b32 v23, v1, 9, 0x7c00
	s_wait_alu 0xfffd
	v_cndmask_b32_e32 v16, 0x7c00, v16, vcc_lo
	v_cmp_eq_u32_e32 vcc_lo, 0x40f, v18
	v_and_or_b32 v13, 0x1ff, v14, v13
	v_bfe_u32 v26, v14, 20, 11
	s_wait_alu 0xfffd
	v_cndmask_b32_e32 v18, v16, v23, vcc_lo
	s_or_b32 vcc_lo, s2, s1
	s_wait_alu 0xfffe
	v_add_co_ci_u32_e32 v15, vcc_lo, 0, v15, vcc_lo
	v_cmp_ne_u32_e32 vcc_lo, 0, v11
	s_wait_alu 0xfffd
	v_cndmask_b32_e64 v11, 0, 1, vcc_lo
	v_cmp_gt_i32_e32 vcc_lo, 31, v20
	s_delay_alu instid0(VALU_DEP_2) | instskip(SKIP_3) | instid1(VALU_DEP_2)
	v_lshl_or_b32 v11, v11, 9, 0x7c00
	s_wait_loadcnt 0x1
	v_mul_f16_e32 v21, v24, v17
	v_mul_f16_e32 v24, v24, v0
	v_fmac_f16_e32 v21, v27, v0
	s_delay_alu instid0(VALU_DEP_2)
	v_fma_f16 v16, v27, v17, -v24
	v_lshrrev_b32_e32 v17, 16, v19
	s_wait_alu 0xfffd
	v_cndmask_b32_e32 v19, 0x7c00, v15, vcc_lo
	v_cmp_ne_u32_e32 vcc_lo, 0, v13
	v_cvt_f32_f16_e32 v21, v21
	scratch_load_b32 v27, off, off offset:20 th:TH_LOAD_LU ; 4-byte Folded Reload
	v_cvt_f32_f16_e32 v15, v16
	s_wait_alu 0xfffd
	v_cndmask_b32_e64 v13, 0, 1, vcc_lo
	v_cvt_f64_f32_e32 v[0:1], v21
	v_or_b32_e32 v21, 0x1000, v5
	v_cvt_f64_f32_e32 v[15:16], v15
	s_delay_alu instid0(VALU_DEP_2) | instskip(NEXT) | instid1(VALU_DEP_1)
	v_lshrrev_b32_e32 v23, v25, v21
	v_lshlrev_b32_e32 v24, v25, v23
	v_lshrrev_b32_e32 v25, 8, v14
	v_lshrrev_b32_e32 v14, 16, v14
	s_delay_alu instid0(VALU_DEP_3) | instskip(NEXT) | instid1(VALU_DEP_3)
	v_cmp_ne_u32_e32 vcc_lo, v24, v21
	v_and_or_b32 v13, 0xffe, v25, v13
	v_sub_nc_u32_e32 v24, 0x3f1, v26
	v_lshrrev_b32_e32 v25, 16, v12
	s_wait_alu 0xfffd
	v_cndmask_b32_e64 v21, 0, 1, vcc_lo
	v_cmp_eq_u32_e32 vcc_lo, 0x40f, v20
	v_med3_i32 v24, v24, 0, 13
	s_delay_alu instid0(VALU_DEP_3)
	v_or_b32_e32 v20, v23, v21
	s_wait_alu 0xfffd
	v_cndmask_b32_e32 v19, v19, v11, vcc_lo
	v_lshl_or_b32 v21, v22, 12, v5
	v_cmp_gt_i32_e32 vcc_lo, 1, v22
	v_or_b32_e32 v23, 0x1000, v13
	s_delay_alu instid0(VALU_DEP_4)
	v_and_or_b32 v9, 0x8000, v25, v19
	v_mul_f64_e32 v[11:12], s[10:11], v[0:1]
	s_wait_alu 0xfffd
	v_cndmask_b32_e32 v1, v21, v20, vcc_lo
	v_add_nc_u32_e32 v21, 0xfffffc10, v26
	scratch_load_b32 v26, off, off offset:16 th:TH_LOAD_LU ; 4-byte Folded Reload
	v_and_or_b32 v0, 0x8000, v17, v18
	v_lshrrev_b32_e32 v17, v24, v23
	v_and_b32_e32 v18, 7, v1
	v_lshrrev_b32_e32 v20, 16, v10
	v_add_co_u32 v3, vcc_lo, v3, s12
	s_delay_alu instid0(VALU_DEP_4)
	v_lshlrev_b32_e32 v19, v24, v17
	s_wait_alu 0xfffd
	v_add_co_ci_u32_e32 v4, vcc_lo, s13, v4, vcc_lo
	v_cmp_lt_i32_e32 vcc_lo, 5, v18
	v_cmp_eq_u32_e64 s0, 3, v18
	v_cmp_ne_u32_e64 s1, v19, v23
	v_lshrrev_b32_e32 v1, 2, v1
	v_mul_f64_e32 v[15:16], s[10:11], v[15:16]
	v_and_b32_e32 v0, 0xffff, v0
	s_or_b32 vcc_lo, s0, vcc_lo
	v_cndmask_b32_e64 v19, 0, 1, s1
	s_wait_alu 0xfffe
	v_add_co_ci_u32_e32 v1, vcc_lo, 0, v1, vcc_lo
	v_cmp_ne_u32_e32 vcc_lo, 0, v5
	v_lshl_or_b32 v23, v21, 12, v13
	v_or_b32_e32 v19, v17, v19
	v_lshl_or_b32 v24, v9, 16, v0
	s_wait_alu 0xfffd
	v_cndmask_b32_e64 v5, 0, 1, vcc_lo
	v_cmp_gt_i32_e32 vcc_lo, 1, v21
	s_delay_alu instid0(VALU_DEP_2) | instskip(SKIP_4) | instid1(VALU_DEP_3)
	v_lshl_or_b32 v5, v5, 9, 0x7c00
	s_wait_alu 0xfffd
	v_cndmask_b32_e32 v9, v23, v19, vcc_lo
	v_cmp_gt_i32_e32 vcc_lo, 31, v22
	v_and_or_b32 v11, 0x1ff, v12, v11
	v_and_b32_e32 v23, 7, v9
	s_wait_alu 0xfffd
	v_cndmask_b32_e32 v19, 0x7c00, v1, vcc_lo
	v_add_co_u32 v0, vcc_lo, v3, s12
	s_wait_alu 0xfffd
	v_add_co_ci_u32_e32 v1, vcc_lo, s13, v4, vcc_lo
	v_cmp_eq_u32_e32 vcc_lo, 0x40f, v22
	v_cmp_ne_u32_e64 s0, 0, v11
	v_lshrrev_b32_e32 v11, 8, v12
	v_bfe_u32 v22, v12, 20, 11
	global_store_b32 v[3:4], v7, off
	global_store_b32 v[0:1], v24, off
	s_wait_alu 0xfffd
	v_cndmask_b32_e32 v19, v19, v5, vcc_lo
	v_cmp_lt_i32_e32 vcc_lo, 5, v23
	s_wait_alu 0xf1ff
	v_cndmask_b32_e64 v5, 0, 1, s0
	v_cmp_eq_u32_e64 s0, 3, v23
	v_lshrrev_b32_e32 v23, 16, v6
	v_lshrrev_b32_e32 v6, 2, v9
	scratch_load_b32 v24, off, off th:TH_LOAD_LU ; 4-byte Folded Reload
	v_and_or_b32 v11, 0xffe, v11, v5
	s_or_b32 vcc_lo, s0, vcc_lo
	v_sub_nc_u32_e32 v5, 0x3f1, v22
	s_wait_alu 0xfffe
	v_add_co_ci_u32_e32 v6, vcc_lo, 0, v6, vcc_lo
	v_cmp_ne_u32_e32 vcc_lo, 0, v13
	v_or_b32_e32 v25, 0x1000, v11
	v_med3_i32 v5, v5, 0, 13
	v_and_or_b32 v13, 0x1ff, v16, v15
	v_add_nc_u32_e32 v22, 0xfffffc10, v22
	v_and_or_b32 v19, 0x8000, v23, v19
	v_lshrrev_b32_e32 v12, 16, v12
	v_lshrrev_b32_e32 v15, v5, v25
	s_delay_alu instid0(VALU_DEP_3)
	v_and_b32_e32 v19, 0xffff, v19
	s_wait_loadcnt 0x2
	v_mul_f16_e32 v18, v27, v20
	v_mul_f16_e32 v9, v27, v10
	v_lshlrev_b32_e32 v27, v5, v15
	s_wait_loadcnt 0x1
	s_delay_alu instid0(VALU_DEP_3)
	v_fmac_f16_e32 v18, v26, v10
	s_wait_alu 0xfffd
	v_cndmask_b32_e64 v10, 0, 1, vcc_lo
	v_cmp_gt_i32_e32 vcc_lo, 31, v21
	v_fma_f16 v9, v26, v20, -v9
	v_cvt_f32_f16_e32 v17, v18
	s_delay_alu instid0(VALU_DEP_4)
	v_lshl_or_b32 v26, v10, 9, 0x7c00
	s_wait_alu 0xfffd
	v_cndmask_b32_e32 v20, 0x7c00, v6, vcc_lo
	v_cmp_ne_u32_e32 vcc_lo, 0, v13
	v_cvt_f32_f16_e32 v9, v9
	v_cvt_f64_f32_e32 v[17:18], v17
	s_wait_alu 0xfffd
	v_cndmask_b32_e64 v13, 0, 1, vcc_lo
	v_cmp_eq_u32_e32 vcc_lo, 0x40f, v21
	v_cvt_f64_f32_e32 v[9:10], v9
	s_wait_alu 0xfffd
	v_cndmask_b32_e32 v20, v20, v26, vcc_lo
	v_cmp_ne_u32_e32 vcc_lo, v27, v25
	v_lshrrev_b32_e32 v26, 16, v2
	s_delay_alu instid0(VALU_DEP_3) | instskip(SKIP_3) | instid1(VALU_DEP_3)
	v_and_or_b32 v14, 0x8000, v14, v20
	s_wait_alu 0xfffd
	v_cndmask_b32_e64 v21, 0, 1, vcc_lo
	v_cmp_gt_i32_e32 vcc_lo, 1, v22
	v_lshl_or_b32 v3, v14, 16, v19
	s_delay_alu instid0(VALU_DEP_3) | instskip(SKIP_2) | instid1(VALU_DEP_1)
	v_or_b32_e32 v15, v15, v21
	v_lshl_or_b32 v21, v22, 12, v11
	s_wait_alu 0xfffd
	v_cndmask_b32_e32 v15, v21, v15, vcc_lo
	v_mul_f16_e32 v21, v29, v26
	s_delay_alu instid0(VALU_DEP_2) | instskip(NEXT) | instid1(VALU_DEP_2)
	v_and_b32_e32 v20, 7, v15
	v_fmac_f16_e32 v21, v28, v2
	v_lshrrev_b32_e32 v15, 2, v15
	v_mul_f16_e32 v2, v29, v2
	s_delay_alu instid0(VALU_DEP_4) | instskip(NEXT) | instid1(VALU_DEP_4)
	v_cmp_lt_i32_e32 vcc_lo, 5, v20
	v_cvt_f32_f16_e32 v4, v21
	v_mul_f64_e32 v[5:6], s[10:11], v[17:18]
	v_lshrrev_b32_e32 v17, 8, v16
	v_bfe_u32 v18, v16, 20, 11
	v_fma_f16 v2, v28, v26, -v2
	v_lshrrev_b32_e32 v16, 16, v16
	s_delay_alu instid0(VALU_DEP_4) | instskip(NEXT) | instid1(VALU_DEP_4)
	v_and_or_b32 v17, 0xffe, v17, v13
	v_sub_nc_u32_e32 v13, 0x3f1, v18
	v_add_nc_u32_e32 v18, 0xfffffc10, v18
	v_cvt_f32_f16_e32 v2, v2
	s_delay_alu instid0(VALU_DEP_4) | instskip(NEXT) | instid1(VALU_DEP_4)
	v_or_b32_e32 v25, 0x1000, v17
	v_med3_i32 v13, v13, 0, 13
	s_delay_alu instid0(VALU_DEP_1) | instskip(NEXT) | instid1(VALU_DEP_1)
	v_lshrrev_b32_e32 v27, v13, v25
	v_lshlrev_b32_e32 v13, v13, v27
	s_delay_alu instid0(VALU_DEP_1)
	v_cmp_ne_u32_e64 s0, v13, v25
	scratch_load_b32 v25, off, off offset:4 th:TH_LOAD_LU ; 4-byte Folded Reload
	v_cvt_f64_f32_e32 v[13:14], v4
	s_wait_alu 0xf1ff
	v_cndmask_b32_e64 v7, 0, 1, s0
	v_cmp_eq_u32_e64 s0, 3, v20
	v_lshl_or_b32 v20, v18, 12, v17
	s_delay_alu instid0(VALU_DEP_3) | instskip(SKIP_1) | instid1(VALU_DEP_4)
	v_or_b32_e32 v7, v27, v7
	v_and_or_b32 v19, 0x1ff, v6, v5
	s_or_b32 vcc_lo, s0, vcc_lo
	v_mul_f64_e32 v[4:5], s[10:11], v[9:10]
	s_wait_alu 0xfffe
	v_add_co_ci_u32_e32 v15, vcc_lo, 0, v15, vcc_lo
	v_cmp_ne_u32_e64 s1, 0, v19
	v_cmp_gt_i32_e32 vcc_lo, 1, v18
	v_lshrrev_b32_e32 v10, 8, v6
	v_bfe_u32 v19, v6, 20, 11
	s_wait_alu 0xf1ff
	v_cndmask_b32_e64 v9, 0, 1, s1
	s_wait_alu 0xfffd
	v_cndmask_b32_e32 v7, v20, v7, vcc_lo
	v_cmp_ne_u32_e32 vcc_lo, 0, v11
	v_cmp_eq_u32_e64 s1, 0x40f, v22
	v_and_or_b32 v20, 0xffe, v10, v9
	v_sub_nc_u32_e32 v9, 0x3f1, v19
	s_wait_alu 0xfffd
	v_cndmask_b32_e64 v10, 0, 1, vcc_lo
	v_and_b32_e32 v11, 7, v7
	v_cmp_gt_i32_e32 vcc_lo, 31, v22
	v_or_b32_e32 v21, 0x1000, v20
	v_med3_i32 v9, v9, 0, 13
	v_lshrrev_b32_e32 v7, 2, v7
	v_cmp_eq_u32_e64 s0, 3, v11
	s_wait_alu 0xfffd
	v_cndmask_b32_e32 v15, 0x7c00, v15, vcc_lo
	v_cmp_lt_i32_e32 vcc_lo, 5, v11
	v_lshl_or_b32 v10, v10, 9, 0x7c00
	v_lshrrev_b32_e32 v23, v9, v21
	s_or_b32 vcc_lo, s0, vcc_lo
	s_delay_alu instid0(VALU_DEP_2)
	v_cndmask_b32_e64 v11, v15, v10, s1
	s_wait_alu 0xfffe
	v_add_co_ci_u32_e32 v7, vcc_lo, 0, v7, vcc_lo
	v_lshlrev_b32_e32 v15, v9, v23
	v_cmp_ne_u32_e32 vcc_lo, 0, v17
	v_mul_f64_e32 v[9:10], s[10:11], v[13:14]
	s_wait_alu 0xfffd
	v_cndmask_b32_e64 v17, 0, 1, vcc_lo
	v_cmp_ne_u32_e32 vcc_lo, v15, v21
	v_add_nc_u32_e32 v15, 0xfffffc10, v19
	v_and_or_b32 v4, 0x1ff, v5, v4
	v_and_or_b32 v19, 0x8000, v12, v11
	v_lshl_or_b32 v14, v17, 9, 0x7c00
	s_wait_alu 0xfffd
	v_cndmask_b32_e64 v13, 0, 1, vcc_lo
	v_cmp_gt_i32_e32 vcc_lo, 31, v18
	v_lshl_or_b32 v17, v15, 12, v20
	v_cvt_f64_f32_e32 v[11:12], v2
	v_lshrrev_b32_e32 v21, 16, v8
	v_or_b32_e32 v13, v23, v13
	s_wait_alu 0xfffd
	v_cndmask_b32_e32 v7, 0x7c00, v7, vcc_lo
	v_cmp_gt_i32_e32 vcc_lo, 1, v15
	v_bfe_u32 v2, v5, 20, 11
	v_and_b32_e32 v19, 0xffff, v19
	s_wait_alu 0xfffd
	v_cndmask_b32_e32 v13, v17, v13, vcc_lo
	v_cmp_ne_u32_e32 vcc_lo, 0, v4
	v_lshrrev_b32_e32 v17, 8, v5
	s_wait_alu 0xfffd
	v_cndmask_b32_e64 v4, 0, 1, vcc_lo
	v_cmp_eq_u32_e32 vcc_lo, 0x40f, v18
	s_delay_alu instid0(VALU_DEP_2)
	v_and_or_b32 v4, 0xffe, v17, v4
	s_wait_alu 0xfffd
	v_dual_cndmask_b32 v7, v7, v14 :: v_dual_and_b32 v14, 7, v13
	v_sub_nc_u32_e32 v17, 0x3f1, v2
	v_add_nc_u32_e32 v2, 0xfffffc10, v2
	v_or_b32_e32 v22, 0x1000, v4
	s_delay_alu instid0(VALU_DEP_4)
	v_and_or_b32 v16, 0x8000, v16, v7
	v_cmp_lt_i32_e32 vcc_lo, 5, v14
	v_cmp_eq_u32_e64 s0, 3, v14
	v_lshrrev_b32_e32 v7, 2, v13
	v_med3_i32 v17, v17, 0, 13
	v_and_or_b32 v9, 0x1ff, v10, v9
	v_lshl_or_b32 v16, v16, 16, v19
	s_or_b32 vcc_lo, s0, vcc_lo
	s_delay_alu instid0(VALU_DEP_3) | instskip(SKIP_2) | instid1(VALU_DEP_1)
	v_lshrrev_b32_e32 v23, v17, v22
	s_wait_loadcnt 0x0
	v_mul_f16_e32 v18, v25, v21
	v_fmac_f16_e32 v18, v24, v8
	v_mul_f16_e32 v8, v25, v8
	s_delay_alu instid0(VALU_DEP_2)
	v_cvt_f32_f16_e32 v13, v18
	s_wait_alu 0xfffe
	v_add_co_ci_u32_e32 v18, vcc_lo, 0, v7, vcc_lo
	v_cmp_ne_u32_e32 vcc_lo, 0, v20
	v_lshlrev_b32_e32 v7, v17, v23
	v_cvt_f64_f32_e32 v[13:14], v13
	v_lshrrev_b32_e32 v20, 8, v10
	v_fma_f16 v8, v24, v21, -v8
	s_wait_alu 0xfffd
	v_cndmask_b32_e64 v17, 0, 1, vcc_lo
	v_cmp_ne_u32_e32 vcc_lo, 0, v9
	s_delay_alu instid0(VALU_DEP_2)
	v_lshl_or_b32 v17, v17, 9, 0x7c00
	s_wait_alu 0xfffd
	v_cndmask_b32_e64 v9, 0, 1, vcc_lo
	v_cmp_ne_u32_e32 vcc_lo, v7, v22
	v_bfe_u32 v22, v10, 20, 11
	v_lshrrev_b32_e32 v10, 16, v10
	s_delay_alu instid0(VALU_DEP_4)
	v_and_or_b32 v9, 0xffe, v20, v9
	v_cvt_f32_f16_e32 v20, v8
	s_wait_alu 0xfffd
	v_cndmask_b32_e64 v21, 0, 1, vcc_lo
	v_mul_f64_e32 v[7:8], s[10:11], v[11:12]
	v_sub_nc_u32_e32 v24, 0x3f1, v22
	v_cmp_gt_i32_e32 vcc_lo, 31, v15
	v_cvt_f64_f32_e32 v[11:12], v20
	v_or_b32_e32 v21, v23, v21
	v_lshl_or_b32 v23, v2, 12, v4
	v_or_b32_e32 v20, 0x1000, v9
	v_med3_i32 v24, v24, 0, 13
	s_wait_alu 0xfffd
	v_cndmask_b32_e32 v18, 0x7c00, v18, vcc_lo
	v_cmp_gt_i32_e32 vcc_lo, 1, v2
	v_add_nc_u32_e32 v19, 0xfffffc10, v22
	v_lshrrev_b32_e32 v25, v24, v20
	s_wait_alu 0xfffd
	v_cndmask_b32_e32 v21, v23, v21, vcc_lo
	v_add_co_u32 v0, vcc_lo, v0, s12
	s_wait_alu 0xfffd
	v_add_co_ci_u32_e32 v1, vcc_lo, s13, v1, vcc_lo
	v_lshlrev_b32_e32 v23, v24, v25
	v_and_b32_e32 v24, 7, v21
	v_cmp_eq_u32_e32 vcc_lo, 0x40f, v15
	v_mul_f64_e32 v[13:14], s[10:11], v[13:14]
	s_delay_alu instid0(VALU_DEP_4) | instskip(NEXT) | instid1(VALU_DEP_4)
	v_cmp_ne_u32_e64 s1, v23, v20
	v_cmp_eq_u32_e64 s0, 3, v24
	s_wait_alu 0xfffd
	v_cndmask_b32_e32 v15, v18, v17, vcc_lo
	v_cmp_lt_i32_e32 vcc_lo, 5, v24
	v_lshrrev_b32_e32 v17, 16, v6
	v_lshrrev_b32_e32 v6, 2, v21
	s_wait_alu 0xf1ff
	v_cndmask_b32_e64 v18, 0, 1, s1
	v_lshl_or_b32 v20, v19, 12, v9
	s_or_b32 vcc_lo, s0, vcc_lo
	v_and_or_b32 v15, 0x8000, v17, v15
	s_wait_alu 0xfffe
	v_add_co_ci_u32_e32 v6, vcc_lo, 0, v6, vcc_lo
	v_cmp_ne_u32_e32 vcc_lo, 0, v4
	v_or_b32_e32 v18, v25, v18
	v_and_or_b32 v22, 0x1ff, v8, v7
	v_bfe_u32 v23, v8, 20, 11
	v_and_b32_e32 v15, 0xffff, v15
	s_wait_alu 0xfffd
	v_cndmask_b32_e64 v4, 0, 1, vcc_lo
	v_cmp_gt_i32_e32 vcc_lo, 31, v2
	s_delay_alu instid0(VALU_DEP_2)
	v_lshl_or_b32 v4, v4, 9, 0x7c00
	s_wait_alu 0xfffd
	v_cndmask_b32_e32 v21, 0x7c00, v6, vcc_lo
	v_mul_f64_e32 v[6:7], s[10:11], v[11:12]
	v_add_co_u32 v11, vcc_lo, v0, s12
	s_wait_alu 0xfffd
	v_add_co_ci_u32_e32 v12, vcc_lo, s13, v1, vcc_lo
	v_cmp_gt_i32_e32 vcc_lo, 1, v19
	s_wait_alu 0xfffd
	v_cndmask_b32_e32 v18, v20, v18, vcc_lo
	v_cmp_ne_u32_e32 vcc_lo, 0, v22
	v_lshrrev_b32_e32 v22, 8, v8
	v_lshrrev_b32_e32 v8, 16, v8
	s_wait_alu 0xfffd
	v_cndmask_b32_e64 v20, 0, 1, vcc_lo
	v_cmp_eq_u32_e32 vcc_lo, 0x40f, v2
	s_delay_alu instid0(VALU_DEP_2)
	v_and_or_b32 v20, 0xffe, v22, v20
	s_wait_alu 0xfffd
	v_cndmask_b32_e32 v2, v21, v4, vcc_lo
	v_lshrrev_b32_e32 v4, 16, v5
	v_and_b32_e32 v5, 7, v18
	v_sub_nc_u32_e32 v21, 0x3f1, v23
	v_bfe_u32 v22, v14, 20, 11
	s_delay_alu instid0(VALU_DEP_4) | instskip(NEXT) | instid1(VALU_DEP_4)
	v_and_or_b32 v2, 0x8000, v4, v2
	v_cmp_lt_i32_e32 vcc_lo, 5, v5
	v_cmp_eq_u32_e64 s0, 3, v5
	v_and_or_b32 v5, 0x1ff, v14, v13
	v_lshrrev_b32_e32 v13, 2, v18
	v_or_b32_e32 v4, 0x1000, v20
	v_med3_i32 v17, v21, 0, 13
	s_or_b32 vcc_lo, s0, vcc_lo
	v_lshrrev_b32_e32 v21, 8, v14
	s_wait_alu 0xfffe
	v_add_co_ci_u32_e32 v13, vcc_lo, 0, v13, vcc_lo
	v_lshrrev_b32_e32 v18, v17, v4
	v_cmp_ne_u32_e32 vcc_lo, 0, v5
	v_and_or_b32 v6, 0x1ff, v7, v6
	v_lshrrev_b32_e32 v24, 8, v7
	v_bfe_u32 v25, v7, 20, 11
	v_lshlrev_b32_e32 v17, v17, v18
	s_wait_alu 0xfffd
	v_cndmask_b32_e64 v5, 0, 1, vcc_lo
	v_cmp_ne_u32_e32 vcc_lo, 0, v9
	v_lshrrev_b32_e32 v7, 16, v7
	v_lshl_or_b32 v2, v2, 16, v15
	s_delay_alu instid0(VALU_DEP_4)
	v_and_or_b32 v5, 0xffe, v21, v5
	s_wait_alu 0xfffd
	v_cndmask_b32_e64 v9, 0, 1, vcc_lo
	v_cmp_ne_u32_e32 vcc_lo, v17, v4
	v_sub_nc_u32_e32 v21, 0x3f1, v22
	v_add_nc_u32_e32 v17, 0xfffffc10, v23
	v_or_b32_e32 v23, 0x1000, v5
	v_lshl_or_b32 v9, v9, 9, 0x7c00
	s_wait_alu 0xfffd
	v_cndmask_b32_e64 v4, 0, 1, vcc_lo
	v_cmp_gt_i32_e32 vcc_lo, 31, v19
	v_med3_i32 v21, v21, 0, 13
	s_delay_alu instid0(VALU_DEP_3)
	v_or_b32_e32 v4, v18, v4
	s_wait_alu 0xfffd
	v_cndmask_b32_e32 v13, 0x7c00, v13, vcc_lo
	v_cmp_ne_u32_e32 vcc_lo, 0, v6
	v_lshl_or_b32 v18, v17, 12, v20
	v_lshrrev_b32_e32 v26, v21, v23
	s_wait_alu 0xfffd
	v_cndmask_b32_e64 v6, 0, 1, vcc_lo
	v_cmp_gt_i32_e32 vcc_lo, 1, v17
	s_delay_alu instid0(VALU_DEP_2)
	v_and_or_b32 v6, 0xffe, v24, v6
	v_sub_nc_u32_e32 v24, 0x3f1, v25
	s_wait_alu 0xfffd
	v_cndmask_b32_e32 v4, v18, v4, vcc_lo
	v_lshlrev_b32_e32 v18, v21, v26
	v_cmp_eq_u32_e32 vcc_lo, 0x40f, v19
	v_or_b32_e32 v21, 0x1000, v6
	v_med3_i32 v24, v24, 0, 13
	v_and_b32_e32 v27, 7, v4
	v_lshrrev_b32_e32 v4, 2, v4
	s_wait_alu 0xfffd
	v_cndmask_b32_e32 v9, v13, v9, vcc_lo
	v_cmp_ne_u32_e32 vcc_lo, v18, v23
	v_add_nc_u32_e32 v18, 0xfffffc10, v22
	v_lshrrev_b32_e32 v19, v24, v21
	v_cmp_eq_u32_e64 s0, 3, v27
	v_and_or_b32 v9, 0x8000, v10, v9
	s_wait_alu 0xfffd
	v_cndmask_b32_e64 v13, 0, 1, vcc_lo
	v_lshl_or_b32 v22, v18, 12, v5
	v_lshlrev_b32_e32 v23, v24, v19
	v_cmp_gt_i32_e64 s1, 1, v18
	v_cmp_lt_i32_e32 vcc_lo, 5, v27
	v_or_b32_e32 v13, v26, v13
	v_and_b32_e32 v9, 0xffff, v9
	s_or_b32 vcc_lo, s0, vcc_lo
	s_delay_alu instid0(VALU_DEP_2)
	v_cndmask_b32_e64 v13, v22, v13, s1
	v_cmp_ne_u32_e64 s1, v23, v21
	v_add_nc_u32_e32 v22, 0xfffffc10, v25
	s_wait_alu 0xfffe
	v_add_co_ci_u32_e32 v4, vcc_lo, 0, v4, vcc_lo
	v_and_b32_e32 v23, 7, v13
	s_wait_alu 0xf1ff
	v_cndmask_b32_e64 v21, 0, 1, s1
	v_cmp_ne_u32_e32 vcc_lo, 0, v20
	v_cmp_gt_i32_e64 s0, 1, v22
	v_lshrrev_b32_e32 v13, 2, v13
	v_cmp_gt_i32_e64 s1, 31, v17
	v_or_b32_e32 v19, v19, v21
	v_lshl_or_b32 v21, v22, 12, v6
	s_wait_alu 0xfffd
	v_cndmask_b32_e64 v20, 0, 1, vcc_lo
	v_cmp_lt_i32_e32 vcc_lo, 5, v23
	s_wait_alu 0xf1ff
	v_cndmask_b32_e64 v4, 0x7c00, v4, s1
	v_cmp_eq_u32_e64 s1, 0x40f, v17
	v_cndmask_b32_e64 v10, v21, v19, s0
	v_cmp_eq_u32_e64 s0, 3, v23
	v_lshl_or_b32 v19, v20, 9, 0x7c00
	s_delay_alu instid0(VALU_DEP_3) | instskip(NEXT) | instid1(VALU_DEP_3)
	v_and_b32_e32 v20, 7, v10
	s_or_b32 vcc_lo, s0, vcc_lo
	v_lshrrev_b32_e32 v10, 2, v10
	s_wait_alu 0xfffe
	v_add_co_ci_u32_e32 v13, vcc_lo, 0, v13, vcc_lo
	v_cmp_ne_u32_e32 vcc_lo, 0, v5
	v_cmp_eq_u32_e64 s0, 3, v20
	v_cndmask_b32_e64 v4, v4, v19, s1
	v_cmp_gt_i32_e64 s1, 31, v18
	s_wait_alu 0xfffd
	v_cndmask_b32_e64 v5, 0, 1, vcc_lo
	v_cmp_lt_i32_e32 vcc_lo, 5, v20
	v_and_or_b32 v8, 0x8000, v8, v4
	s_wait_alu 0xf1ff
	v_cndmask_b32_e64 v13, 0x7c00, v13, s1
	v_lshl_or_b32 v5, v5, 9, 0x7c00
	s_or_b32 vcc_lo, s0, vcc_lo
	s_wait_alu 0xfffe
	v_add_co_ci_u32_e32 v10, vcc_lo, 0, v10, vcc_lo
	v_cmp_ne_u32_e32 vcc_lo, 0, v6
	s_wait_alu 0xfffd
	v_cndmask_b32_e64 v6, 0, 1, vcc_lo
	v_cmp_eq_u32_e32 vcc_lo, 0x40f, v18
	s_delay_alu instid0(VALU_DEP_2)
	v_lshl_or_b32 v6, v6, 9, 0x7c00
	s_wait_alu 0xfffd
	v_cndmask_b32_e32 v5, v13, v5, vcc_lo
	v_cmp_gt_i32_e32 vcc_lo, 31, v22
	v_lshrrev_b32_e32 v13, 16, v14
	s_wait_alu 0xfffd
	v_cndmask_b32_e32 v10, 0x7c00, v10, vcc_lo
	v_cmp_eq_u32_e32 vcc_lo, 0x40f, v22
	s_delay_alu instid0(VALU_DEP_3) | instskip(SKIP_1) | instid1(VALU_DEP_3)
	v_and_or_b32 v13, 0x8000, v13, v5
	s_wait_alu 0xfffd
	v_cndmask_b32_e32 v6, v10, v6, vcc_lo
	v_add_co_u32 v4, vcc_lo, v11, s12
	s_wait_alu 0xfffd
	v_add_co_ci_u32_e32 v5, vcc_lo, s13, v12, vcc_lo
	v_lshl_or_b32 v10, v8, 16, v9
	v_and_or_b32 v8, 0x8000, v7, v6
	v_and_b32_e32 v9, 0xffff, v13
	v_add_co_u32 v6, vcc_lo, v4, s12
	s_wait_alu 0xfffd
	v_add_co_ci_u32_e32 v7, vcc_lo, s13, v5, vcc_lo
	s_delay_alu instid0(VALU_DEP_3) | instskip(NEXT) | instid1(VALU_DEP_3)
	v_lshl_or_b32 v13, v8, 16, v9
	v_add_co_u32 v8, vcc_lo, v6, s12
	s_wait_alu 0xfffd
	s_delay_alu instid0(VALU_DEP_3)
	v_add_co_ci_u32_e32 v9, vcc_lo, s13, v7, vcc_lo
	global_store_b32 v[0:1], v3, off
	global_store_b32 v[11:12], v16, off
	;; [unrolled: 1-line block ×5, first 2 shown]
.LBB0_2:
	s_nop 0
	s_sendmsg sendmsg(MSG_DEALLOC_VGPRS)
	s_endpgm
	.section	.rodata,"a",@progbits
	.p2align	6, 0x0
	.amdhsa_kernel bluestein_single_fwd_len4050_dim1_half_op_CI_CI
		.amdhsa_group_segment_fixed_size 16200
		.amdhsa_private_segment_fixed_size 336
		.amdhsa_kernarg_size 104
		.amdhsa_user_sgpr_count 2
		.amdhsa_user_sgpr_dispatch_ptr 0
		.amdhsa_user_sgpr_queue_ptr 0
		.amdhsa_user_sgpr_kernarg_segment_ptr 1
		.amdhsa_user_sgpr_dispatch_id 0
		.amdhsa_user_sgpr_private_segment_size 0
		.amdhsa_wavefront_size32 1
		.amdhsa_uses_dynamic_stack 0
		.amdhsa_enable_private_segment 1
		.amdhsa_system_sgpr_workgroup_id_x 1
		.amdhsa_system_sgpr_workgroup_id_y 0
		.amdhsa_system_sgpr_workgroup_id_z 0
		.amdhsa_system_sgpr_workgroup_info 0
		.amdhsa_system_vgpr_workitem_id 0
		.amdhsa_next_free_vgpr 256
		.amdhsa_next_free_sgpr 20
		.amdhsa_reserve_vcc 1
		.amdhsa_float_round_mode_32 0
		.amdhsa_float_round_mode_16_64 0
		.amdhsa_float_denorm_mode_32 3
		.amdhsa_float_denorm_mode_16_64 3
		.amdhsa_fp16_overflow 0
		.amdhsa_workgroup_processor_mode 1
		.amdhsa_memory_ordered 1
		.amdhsa_forward_progress 0
		.amdhsa_round_robin_scheduling 0
		.amdhsa_exception_fp_ieee_invalid_op 0
		.amdhsa_exception_fp_denorm_src 0
		.amdhsa_exception_fp_ieee_div_zero 0
		.amdhsa_exception_fp_ieee_overflow 0
		.amdhsa_exception_fp_ieee_underflow 0
		.amdhsa_exception_fp_ieee_inexact 0
		.amdhsa_exception_int_div_zero 0
	.end_amdhsa_kernel
	.text
.Lfunc_end0:
	.size	bluestein_single_fwd_len4050_dim1_half_op_CI_CI, .Lfunc_end0-bluestein_single_fwd_len4050_dim1_half_op_CI_CI
                                        ; -- End function
	.section	.AMDGPU.csdata,"",@progbits
; Kernel info:
; codeLenInByte = 65100
; NumSgprs: 22
; NumVgprs: 256
; ScratchSize: 336
; MemoryBound: 0
; FloatMode: 240
; IeeeMode: 1
; LDSByteSize: 16200 bytes/workgroup (compile time only)
; SGPRBlocks: 2
; VGPRBlocks: 31
; NumSGPRsForWavesPerEU: 22
; NumVGPRsForWavesPerEU: 256
; Occupancy: 5
; WaveLimiterHint : 1
; COMPUTE_PGM_RSRC2:SCRATCH_EN: 1
; COMPUTE_PGM_RSRC2:USER_SGPR: 2
; COMPUTE_PGM_RSRC2:TRAP_HANDLER: 0
; COMPUTE_PGM_RSRC2:TGID_X_EN: 1
; COMPUTE_PGM_RSRC2:TGID_Y_EN: 0
; COMPUTE_PGM_RSRC2:TGID_Z_EN: 0
; COMPUTE_PGM_RSRC2:TIDIG_COMP_CNT: 0
	.text
	.p2alignl 7, 3214868480
	.fill 96, 4, 3214868480
	.type	__hip_cuid_353298bf5480844a,@object ; @__hip_cuid_353298bf5480844a
	.section	.bss,"aw",@nobits
	.globl	__hip_cuid_353298bf5480844a
__hip_cuid_353298bf5480844a:
	.byte	0                               ; 0x0
	.size	__hip_cuid_353298bf5480844a, 1

	.ident	"AMD clang version 19.0.0git (https://github.com/RadeonOpenCompute/llvm-project roc-6.4.0 25133 c7fe45cf4b819c5991fe208aaa96edf142730f1d)"
	.section	".note.GNU-stack","",@progbits
	.addrsig
	.addrsig_sym __hip_cuid_353298bf5480844a
	.amdgpu_metadata
---
amdhsa.kernels:
  - .args:
      - .actual_access:  read_only
        .address_space:  global
        .offset:         0
        .size:           8
        .value_kind:     global_buffer
      - .actual_access:  read_only
        .address_space:  global
        .offset:         8
        .size:           8
        .value_kind:     global_buffer
      - .actual_access:  read_only
        .address_space:  global
        .offset:         16
        .size:           8
        .value_kind:     global_buffer
      - .actual_access:  read_only
        .address_space:  global
        .offset:         24
        .size:           8
        .value_kind:     global_buffer
      - .actual_access:  read_only
        .address_space:  global
        .offset:         32
        .size:           8
        .value_kind:     global_buffer
      - .offset:         40
        .size:           8
        .value_kind:     by_value
      - .address_space:  global
        .offset:         48
        .size:           8
        .value_kind:     global_buffer
      - .address_space:  global
        .offset:         56
        .size:           8
        .value_kind:     global_buffer
      - .address_space:  global
        .offset:         64
        .size:           8
        .value_kind:     global_buffer
      - .address_space:  global
        .offset:         72
        .size:           8
        .value_kind:     global_buffer
      - .offset:         80
        .size:           4
        .value_kind:     by_value
      - .address_space:  global
        .offset:         88
        .size:           8
        .value_kind:     global_buffer
      - .address_space:  global
        .offset:         96
        .size:           8
        .value_kind:     global_buffer
    .group_segment_fixed_size: 16200
    .kernarg_segment_align: 8
    .kernarg_segment_size: 104
    .language:       OpenCL C
    .language_version:
      - 2
      - 0
    .max_flat_workgroup_size: 135
    .name:           bluestein_single_fwd_len4050_dim1_half_op_CI_CI
    .private_segment_fixed_size: 336
    .sgpr_count:     22
    .sgpr_spill_count: 0
    .symbol:         bluestein_single_fwd_len4050_dim1_half_op_CI_CI.kd
    .uniform_work_group_size: 1
    .uses_dynamic_stack: false
    .vgpr_count:     256
    .vgpr_spill_count: 83
    .wavefront_size: 32
    .workgroup_processor_mode: 1
amdhsa.target:   amdgcn-amd-amdhsa--gfx1201
amdhsa.version:
  - 1
  - 2
...

	.end_amdgpu_metadata
